;; amdgpu-corpus repo=ROCm/rocFFT kind=compiled arch=gfx1030 opt=O3
	.text
	.amdgcn_target "amdgcn-amd-amdhsa--gfx1030"
	.amdhsa_code_object_version 6
	.protected	bluestein_single_fwd_len2025_dim1_dp_op_CI_CI ; -- Begin function bluestein_single_fwd_len2025_dim1_dp_op_CI_CI
	.globl	bluestein_single_fwd_len2025_dim1_dp_op_CI_CI
	.p2align	8
	.type	bluestein_single_fwd_len2025_dim1_dp_op_CI_CI,@function
bluestein_single_fwd_len2025_dim1_dp_op_CI_CI: ; @bluestein_single_fwd_len2025_dim1_dp_op_CI_CI
; %bb.0:
	s_load_dwordx4 s[12:15], s[4:5], 0x28
	v_mul_u32_u24_e32 v1, 0x1e6, v0
	s_mov_b64 s[26:27], s[2:3]
	s_mov_b64 s[24:25], s[0:1]
	v_mov_b32_e32 v2, 0
	s_add_u32 s24, s24, s7
	v_lshrrev_b32_e32 v3, 16, v1
	s_addc_u32 s25, s25, 0
	s_mov_b32 s0, exec_lo
	v_add_nc_u32_e32 v1, s6, v3
	s_waitcnt lgkmcnt(0)
	v_cmpx_gt_u64_e64 s[12:13], v[1:2]
	s_cbranch_execz .LBB0_2
; %bb.1:
	s_clause 0x2
	s_load_dwordx4 s[8:11], s[4:5], 0x0
	s_load_dwordx4 s[16:19], s[4:5], 0x18
	s_load_dwordx2 s[12:13], s[4:5], 0x38
	v_mov_b32_e32 v255, 4
	s_waitcnt lgkmcnt(0)
	s_load_dwordx4 s[0:3], s[18:19], 0x0
	s_mov_b32 s19, 0xbfee6f0e
	s_waitcnt lgkmcnt(0)
	v_mad_u64_u32 v[6:7], null, s2, v1, 0
	v_mov_b32_e32 v2, v7
	v_mad_u64_u32 v[4:5], null, s3, v1, v[2:3]
	v_mov_b32_e32 v7, v4
	buffer_store_dword v6, off, s[24:27], 0 offset:208 ; 4-byte Folded Spill
	buffer_store_dword v7, off, s[24:27], 0 offset:212 ; 4-byte Folded Spill
	s_load_dwordx4 s[4:7], s[16:17], 0x0
	s_mov_b32 s17, 0xbfe2cf23
	s_waitcnt lgkmcnt(0)
	v_mad_u64_u32 v[4:5], null, s6, v1, 0
	s_mul_hi_u32 s3, s4, 0x2a30
	v_mov_b32_e32 v2, v5
	v_mad_u64_u32 v[1:2], null, s7, v1, v[2:3]
	v_mov_b32_e32 v5, v1
	v_mul_lo_u16 v1, 0x87, v3
	v_sub_nc_u16 v254, v0, v1
	v_and_b32_e32 v3, 0xffff, v254
	v_mov_b32_e32 v53, v3
	v_mad_u64_u32 v[0:1], null, s4, v3, 0
	v_lshlrev_b32_e32 v52, 4, v53
	v_add_co_u32 v244, s6, 0x87, v53
	v_add_co_ci_u32_e64 v14, null, 0, 0, s6
	global_load_dwordx4 v[10:13], v52, s[8:9]
	v_mad_u64_u32 v[1:2], null, s5, v3, v[1:2]
	v_lshlrev_b64 v[2:3], 4, v[4:5]
	v_add_co_u32 v104, s2, s8, v52
	v_add_co_ci_u32_e64 v105, null, s9, 0, s2
	s_mul_i32 s2, s5, 0x2a30
	v_lshlrev_b64 v[0:1], 4, v[0:1]
	v_add_co_u32 v2, vcc_lo, s14, v2
	v_add_co_ci_u32_e32 v3, vcc_lo, s15, v3, vcc_lo
	s_add_i32 s2, s3, s2
	v_add_co_u32 v8, vcc_lo, v2, v0
	v_add_co_ci_u32_e32 v9, vcc_lo, v3, v1, vcc_lo
	s_mul_i32 s3, s4, 0x2a30
	s_mul_hi_u32 s6, s4, 0xffffb410
	s_mulk_i32 s5, 0xb410
	global_load_dwordx4 v[0:3], v[8:9], off
	v_add_co_u32 v8, vcc_lo, v8, s3
	v_add_co_ci_u32_e32 v9, vcc_lo, s2, v9, vcc_lo
	s_sub_i32 s6, s6, s4
	s_mulk_i32 s4, 0xb410
	s_add_i32 s5, s6, s5
	v_add_co_u32 v253, null, 0x10e, v53
	v_add_co_u32 v106, null, 0x195, v53
	;; [unrolled: 1-line block ×3, first 2 shown]
	s_mov_b32 s8, 0x4755a5e
	s_mov_b32 s9, 0x3fe2cf23
	;; [unrolled: 1-line block ×5, first 2 shown]
	s_waitcnt vmcnt(1)
	buffer_store_dword v10, off, s[24:27], 0 offset:216 ; 4-byte Folded Spill
	buffer_store_dword v11, off, s[24:27], 0 offset:220 ; 4-byte Folded Spill
	;; [unrolled: 1-line block ×4, first 2 shown]
	s_waitcnt vmcnt(0)
	v_mul_f64 v[4:5], v[2:3], v[12:13]
	v_fma_f64 v[4:5], v[0:1], v[10:11], v[4:5]
	v_mul_f64 v[0:1], v[0:1], v[12:13]
	v_fma_f64 v[6:7], v[2:3], v[10:11], -v[0:1]
	global_load_dwordx4 v[0:3], v[8:9], off
	ds_write_b128 v52, v[4:7]
	v_add_co_u32 v4, vcc_lo, 0x2800, v104
	v_add_co_ci_u32_e32 v5, vcc_lo, 0, v105, vcc_lo
	v_add_co_u32 v8, vcc_lo, v8, s3
	v_add_co_ci_u32_e32 v9, vcc_lo, s2, v9, vcc_lo
	global_load_dwordx4 v[10:13], v[4:5], off offset:560
	s_waitcnt vmcnt(0)
	buffer_store_dword v10, off, s[24:27], 0 offset:232 ; 4-byte Folded Spill
	buffer_store_dword v11, off, s[24:27], 0 offset:236 ; 4-byte Folded Spill
	buffer_store_dword v12, off, s[24:27], 0 offset:240 ; 4-byte Folded Spill
	buffer_store_dword v13, off, s[24:27], 0 offset:244 ; 4-byte Folded Spill
	v_mul_f64 v[4:5], v[2:3], v[12:13]
	v_fma_f64 v[4:5], v[0:1], v[10:11], v[4:5]
	v_mul_f64 v[0:1], v[0:1], v[12:13]
	v_fma_f64 v[6:7], v[2:3], v[10:11], -v[0:1]
	global_load_dwordx4 v[0:3], v[8:9], off
	ds_write_b128 v52, v[4:7] offset:10800
	v_add_co_u32 v4, vcc_lo, 0x5000, v104
	v_add_co_ci_u32_e32 v5, vcc_lo, 0, v105, vcc_lo
	v_add_co_u32 v8, vcc_lo, v8, s4
	v_add_co_ci_u32_e32 v9, vcc_lo, s5, v9, vcc_lo
	global_load_dwordx4 v[10:13], v[4:5], off offset:1120
	s_waitcnt vmcnt(0)
	buffer_store_dword v10, off, s[24:27], 0 offset:96 ; 4-byte Folded Spill
	buffer_store_dword v11, off, s[24:27], 0 offset:100 ; 4-byte Folded Spill
	buffer_store_dword v12, off, s[24:27], 0 offset:104 ; 4-byte Folded Spill
	buffer_store_dword v13, off, s[24:27], 0 offset:108 ; 4-byte Folded Spill
	v_mul_f64 v[4:5], v[2:3], v[12:13]
	v_fma_f64 v[4:5], v[0:1], v[10:11], v[4:5]
	v_mul_f64 v[0:1], v[0:1], v[12:13]
	v_fma_f64 v[6:7], v[2:3], v[10:11], -v[0:1]
	global_load_dwordx4 v[0:3], v[8:9], off
	ds_write_b128 v52, v[4:7] offset:21600
	;; [unrolled: 16-line block ×3, first 2 shown]
	v_add_co_u32 v4, vcc_lo, 0x3000, v104
	v_add_co_ci_u32_e32 v5, vcc_lo, 0, v105, vcc_lo
	v_add_co_u32 v8, vcc_lo, v8, s3
	v_add_co_ci_u32_e32 v9, vcc_lo, s2, v9, vcc_lo
	global_load_dwordx4 v[10:13], v[4:5], off offset:672
	s_waitcnt vmcnt(0)
	buffer_store_dword v10, off, s[24:27], 0 ; 4-byte Folded Spill
	buffer_store_dword v11, off, s[24:27], 0 offset:4 ; 4-byte Folded Spill
	buffer_store_dword v12, off, s[24:27], 0 offset:8 ; 4-byte Folded Spill
	buffer_store_dword v13, off, s[24:27], 0 offset:12 ; 4-byte Folded Spill
	v_mul_f64 v[4:5], v[2:3], v[12:13]
	v_fma_f64 v[4:5], v[0:1], v[10:11], v[4:5]
	v_mul_f64 v[0:1], v[0:1], v[12:13]
	v_fma_f64 v[6:7], v[2:3], v[10:11], -v[0:1]
	global_load_dwordx4 v[0:3], v[8:9], off
	ds_write_b128 v52, v[4:7] offset:12960
	v_add_co_u32 v4, vcc_lo, 0x5800, v104
	v_add_co_ci_u32_e32 v5, vcc_lo, 0, v105, vcc_lo
	v_add_co_u32 v8, vcc_lo, v8, s4
	v_add_co_ci_u32_e32 v9, vcc_lo, s5, v9, vcc_lo
	global_load_dwordx4 v[10:13], v[4:5], off offset:1232
	s_waitcnt vmcnt(0)
	buffer_store_dword v10, off, s[24:27], 0 offset:32 ; 4-byte Folded Spill
	buffer_store_dword v11, off, s[24:27], 0 offset:36 ; 4-byte Folded Spill
	buffer_store_dword v12, off, s[24:27], 0 offset:40 ; 4-byte Folded Spill
	buffer_store_dword v13, off, s[24:27], 0 offset:44 ; 4-byte Folded Spill
	v_mul_f64 v[4:5], v[2:3], v[12:13]
	v_fma_f64 v[4:5], v[0:1], v[10:11], v[4:5]
	v_mul_f64 v[0:1], v[0:1], v[12:13]
	v_fma_f64 v[6:7], v[2:3], v[10:11], -v[0:1]
	global_load_dwordx4 v[0:3], v[8:9], off
	ds_write_b128 v52, v[4:7] offset:23760
	v_add_co_u32 v4, vcc_lo, 0x1000, v104
	v_add_co_ci_u32_e32 v5, vcc_lo, 0, v105, vcc_lo
	v_add_co_u32 v8, vcc_lo, v8, s3
	v_add_co_ci_u32_e32 v9, vcc_lo, s2, v9, vcc_lo
	global_load_dwordx4 v[10:13], v[4:5], off offset:224
	s_waitcnt vmcnt(0)
	buffer_store_dword v10, off, s[24:27], 0 offset:80 ; 4-byte Folded Spill
	;; [unrolled: 16-line block ×6, first 2 shown]
	buffer_store_dword v11, off, s[24:27], 0 offset:180 ; 4-byte Folded Spill
	buffer_store_dword v12, off, s[24:27], 0 offset:184 ; 4-byte Folded Spill
	;; [unrolled: 1-line block ×3, first 2 shown]
	v_mul_f64 v[4:5], v[2:3], v[12:13]
	v_fma_f64 v[4:5], v[0:1], v[10:11], v[4:5]
	v_mul_f64 v[0:1], v[0:1], v[12:13]
	v_fma_f64 v[6:7], v[2:3], v[10:11], -v[0:1]
	global_load_dwordx4 v[0:3], v[8:9], off
	ds_write_b128 v52, v[4:7] offset:17280
	v_add_co_u32 v4, vcc_lo, 0x6800, v104
	v_add_co_ci_u32_e32 v5, vcc_lo, 0, v105, vcc_lo
	v_add_co_u32 v8, vcc_lo, v8, s4
	v_add_co_ci_u32_e32 v9, vcc_lo, s5, v9, vcc_lo
	global_load_dwordx4 v[10:13], v[4:5], off offset:1456
	s_mov_b32 s5, 0xbfebb67a
	s_waitcnt vmcnt(0)
	buffer_store_dword v10, off, s[24:27], 0 offset:192 ; 4-byte Folded Spill
	buffer_store_dword v11, off, s[24:27], 0 offset:196 ; 4-byte Folded Spill
	;; [unrolled: 1-line block ×4, first 2 shown]
	v_mul_f64 v[4:5], v[2:3], v[12:13]
	v_fma_f64 v[4:5], v[0:1], v[10:11], v[4:5]
	v_mul_f64 v[0:1], v[0:1], v[12:13]
	v_fma_f64 v[6:7], v[2:3], v[10:11], -v[0:1]
	global_load_dwordx4 v[0:3], v[8:9], off
	ds_write_b128 v52, v[4:7] offset:28080
	v_add_co_u32 v4, vcc_lo, 0x2000, v104
	v_add_co_ci_u32_e32 v5, vcc_lo, 0, v105, vcc_lo
	v_add_co_u32 v8, vcc_lo, v8, s3
	v_add_co_ci_u32_e32 v9, vcc_lo, s2, v9, vcc_lo
	global_load_dwordx4 v[10:13], v[4:5], off offset:448
	s_waitcnt vmcnt(0)
	buffer_store_dword v10, off, s[24:27], 0 offset:64 ; 4-byte Folded Spill
	buffer_store_dword v11, off, s[24:27], 0 offset:68 ; 4-byte Folded Spill
	;; [unrolled: 1-line block ×4, first 2 shown]
	v_mul_f64 v[4:5], v[2:3], v[12:13]
	v_fma_f64 v[4:5], v[0:1], v[10:11], v[4:5]
	v_mul_f64 v[0:1], v[0:1], v[12:13]
	v_fma_f64 v[6:7], v[2:3], v[10:11], -v[0:1]
	global_load_dwordx4 v[0:3], v[8:9], off
	ds_write_b128 v52, v[4:7] offset:8640
	v_add_co_u32 v4, vcc_lo, 0x4800, v104
	v_add_co_ci_u32_e32 v5, vcc_lo, 0, v105, vcc_lo
	global_load_dwordx4 v[10:13], v[4:5], off offset:1008
	s_waitcnt vmcnt(0)
	buffer_store_dword v10, off, s[24:27], 0 offset:48 ; 4-byte Folded Spill
	buffer_store_dword v11, off, s[24:27], 0 offset:52 ; 4-byte Folded Spill
	;; [unrolled: 1-line block ×4, first 2 shown]
	v_mul_f64 v[4:5], v[2:3], v[12:13]
	v_fma_f64 v[4:5], v[0:1], v[10:11], v[4:5]
	v_mul_f64 v[0:1], v[0:1], v[12:13]
	v_fma_f64 v[6:7], v[2:3], v[10:11], -v[0:1]
	v_add_co_u32 v0, vcc_lo, v8, s3
	v_add_co_ci_u32_e32 v1, vcc_lo, s2, v9, vcc_lo
	s_mov_b32 s2, 0xe8584caa
	s_mov_b32 s3, 0x3febb67a
	;; [unrolled: 1-line block ×3, first 2 shown]
	global_load_dwordx4 v[0:3], v[0:1], off
	ds_write_b128 v52, v[4:7] offset:19440
	v_add_co_u32 v4, vcc_lo, 0x7000, v104
	v_add_co_ci_u32_e32 v5, vcc_lo, 0, v105, vcc_lo
	global_load_dwordx4 v[6:9], v[4:5], off offset:1568
	s_waitcnt vmcnt(0)
	buffer_store_dword v6, off, s[24:27], 0 offset:16 ; 4-byte Folded Spill
	buffer_store_dword v7, off, s[24:27], 0 offset:20 ; 4-byte Folded Spill
	;; [unrolled: 1-line block ×4, first 2 shown]
	v_mul_f64 v[4:5], v[2:3], v[8:9]
	v_fma_f64 v[4:5], v[0:1], v[6:7], v[4:5]
	v_mul_f64 v[0:1], v[0:1], v[8:9]
	v_fma_f64 v[6:7], v[2:3], v[6:7], -v[0:1]
	ds_write_b128 v52, v[4:7] offset:30240
	s_waitcnt lgkmcnt(0)
	s_waitcnt_vscnt null, 0x0
	s_barrier
	buffer_gl0_inv
	ds_read_b128 v[4:7], v52
	ds_read_b128 v[15:18], v52 offset:10800
	ds_read_b128 v[19:22], v52 offset:21600
	;; [unrolled: 1-line block ×14, first 2 shown]
	s_waitcnt lgkmcnt(0)
	s_barrier
	buffer_gl0_inv
	v_add_f64 v[0:1], v[4:5], v[15:16]
	v_add_f64 v[2:3], v[15:16], v[19:20]
	;; [unrolled: 1-line block ×3, first 2 shown]
	v_add_f64 v[8:9], v[17:18], -v[21:22]
	v_add_f64 v[12:13], v[15:16], -v[19:20]
	v_mov_b32_e32 v15, 0xaaab
	v_add_f64 v[40:41], v[68:69], -v[72:73]
	v_add_f64 v[0:1], v[0:1], v[19:20]
	v_fma_f64 v[2:3], v[2:3], -0.5, v[4:5]
	v_fma_f64 v[10:11], v[10:11], -0.5, v[6:7]
	v_fma_f64 v[4:5], v[8:9], s[2:3], v[2:3]
	v_fma_f64 v[8:9], v[8:9], s[4:5], v[2:3]
	v_add_f64 v[2:3], v[6:7], v[17:18]
	v_fma_f64 v[6:7], v[12:13], s[4:5], v[10:11]
	v_fma_f64 v[10:11], v[12:13], s[2:3], v[10:11]
	v_add_f64 v[12:13], v[23:24], v[27:28]
	v_add_f64 v[18:19], v[29:30], -v[33:34]
	v_add_f64 v[2:3], v[2:3], v[21:22]
	v_add_f64 v[16:17], v[12:13], v[31:32]
	;; [unrolled: 1-line block ×3, first 2 shown]
	v_fma_f64 v[12:13], v[12:13], -0.5, v[23:24]
	v_fma_f64 v[20:21], v[18:19], s[2:3], v[12:13]
	v_fma_f64 v[88:89], v[18:19], s[4:5], v[12:13]
	v_add_f64 v[12:13], v[25:26], v[29:30]
	v_add_f64 v[18:19], v[12:13], v[33:34]
	;; [unrolled: 1-line block ×3, first 2 shown]
	v_fma_f64 v[12:13], v[12:13], -0.5, v[25:26]
	v_add_f64 v[24:25], v[27:28], -v[31:32]
	v_add_f64 v[26:27], v[48:49], -v[62:63]
	v_fma_f64 v[22:23], v[24:25], s[4:5], v[12:13]
	v_fma_f64 v[90:91], v[24:25], s[2:3], v[12:13]
	v_add_f64 v[12:13], v[35:36], v[46:47]
	v_add_f64 v[24:25], v[12:13], v[60:61]
	v_add_f64 v[12:13], v[46:47], v[60:61]
	v_fma_f64 v[12:13], v[12:13], -0.5, v[35:36]
	v_add_f64 v[34:35], v[46:47], -v[60:61]
	v_fma_f64 v[28:29], v[26:27], s[2:3], v[12:13]
	v_fma_f64 v[32:33], v[26:27], s[4:5], v[12:13]
	v_add_f64 v[12:13], v[37:38], v[48:49]
	v_add_f64 v[26:27], v[12:13], v[62:63]
	v_add_f64 v[12:13], v[48:49], v[62:63]
	v_fma_f64 v[12:13], v[12:13], -0.5, v[37:38]
	;; [unrolled: 7-line block ×3, first 2 shown]
	v_fma_f64 v[46:47], v[38:39], s[2:3], v[12:13]
	v_fma_f64 v[60:61], v[38:39], s[4:5], v[12:13]
	v_add_f64 v[12:13], v[66:67], v[70:71]
	v_add_f64 v[38:39], v[12:13], v[74:75]
	;; [unrolled: 1-line block ×3, first 2 shown]
	v_fma_f64 v[12:13], v[12:13], -0.5, v[66:67]
	v_fma_f64 v[48:49], v[40:41], s[4:5], v[12:13]
	v_fma_f64 v[62:63], v[40:41], s[2:3], v[12:13]
	v_add_f64 v[12:13], v[76:77], v[80:81]
	v_add_f64 v[40:41], v[82:83], -v[86:87]
	v_add_f64 v[64:65], v[12:13], v[84:85]
	v_add_f64 v[12:13], v[80:81], v[84:85]
	v_fma_f64 v[12:13], v[12:13], -0.5, v[76:77]
	v_fma_f64 v[68:69], v[40:41], s[2:3], v[12:13]
	v_fma_f64 v[72:73], v[40:41], s[4:5], v[12:13]
	v_add_f64 v[12:13], v[78:79], v[82:83]
	v_add_f64 v[40:41], v[80:81], -v[84:85]
	v_add_f64 v[66:67], v[12:13], v[86:87]
	v_add_f64 v[12:13], v[82:83], v[86:87]
	v_fma_f64 v[12:13], v[12:13], -0.5, v[78:79]
	v_fma_f64 v[70:71], v[40:41], s[4:5], v[12:13]
	v_fma_f64 v[74:75], v[40:41], s[2:3], v[12:13]
	v_mul_lo_u16 v12, v254, 3
	v_lshlrev_b32_sdwa v12, v255, v12 dst_sel:DWORD dst_unused:UNUSED_PAD src0_sel:DWORD src1_sel:WORD_0
	buffer_store_dword v12, off, s[24:27], 0 offset:300 ; 4-byte Folded Spill
	ds_write_b128 v12, v[0:3]
	ds_write_b128 v12, v[4:7] offset:16
	ds_write_b128 v12, v[8:11] offset:32
	v_mul_u32_u24_e32 v0, 3, v244
	v_lshlrev_b32_e32 v0, 4, v0
	buffer_store_dword v0, off, s[24:27], 0 offset:296 ; 4-byte Folded Spill
	ds_write_b128 v0, v[16:19]
	ds_write_b128 v0, v[20:23] offset:16
	ds_write_b128 v0, v[88:91] offset:32
	v_mul_u32_u24_e32 v0, 3, v253
	v_lshlrev_b32_e32 v0, 4, v0
	;; [unrolled: 6-line block ×3, first 2 shown]
	buffer_store_dword v0, off, s[24:27], 0 offset:288 ; 4-byte Folded Spill
	ds_write_b128 v0, v[36:39]
	ds_write_b128 v0, v[46:49] offset:16
	ds_write_b128 v0, v[60:63] offset:32
	v_and_b32_e32 v48, 0xff, v254
	v_mul_u32_u24_e32 v0, 3, v59
	v_mul_lo_u16 v12, 0xab, v48
	v_lshlrev_b32_e32 v0, 4, v0
	v_lshrrev_b16 v40, 9, v12
	buffer_store_dword v0, off, s[24:27], 0 offset:284 ; 4-byte Folded Spill
	ds_write_b128 v0, v[64:67]
	ds_write_b128 v0, v[68:71] offset:16
	ds_write_b128 v0, v[72:75] offset:32
	s_waitcnt lgkmcnt(0)
	s_waitcnt_vscnt null, 0x0
	s_barrier
	v_mul_lo_u16 v12, v40, 3
	buffer_gl0_inv
	ds_read_b128 v[16:19], v52
	ds_read_b128 v[30:33], v52 offset:10800
	ds_read_b128 v[34:37], v52 offset:21600
	;; [unrolled: 1-line block ×14, first 2 shown]
	v_sub_nc_u16 v12, v254, v12
	v_and_b32_e32 v41, 0xff, v12
	v_lshlrev_b32_e32 v12, 5, v41
	global_load_dwordx4 v[42:45], v12, s[10:11] offset:16
	s_waitcnt vmcnt(0)
	buffer_store_dword v42, off, s[24:27], 0 offset:252 ; 4-byte Folded Spill
	buffer_store_dword v43, off, s[24:27], 0 offset:256 ; 4-byte Folded Spill
	;; [unrolled: 1-line block ×4, first 2 shown]
	global_load_dwordx4 v[54:57], v12, s[10:11]
	s_waitcnt vmcnt(0)
	buffer_store_dword v54, off, s[24:27], 0 offset:268 ; 4-byte Folded Spill
	buffer_store_dword v55, off, s[24:27], 0 offset:272 ; 4-byte Folded Spill
	buffer_store_dword v56, off, s[24:27], 0 offset:276 ; 4-byte Folded Spill
	buffer_store_dword v57, off, s[24:27], 0 offset:280 ; 4-byte Folded Spill
	s_waitcnt lgkmcnt(13)
	v_mul_f64 v[12:13], v[32:33], v[56:57]
	v_fma_f64 v[28:29], v[30:31], v[54:55], -v[12:13]
	v_mul_f64 v[12:13], v[30:31], v[56:57]
	v_fma_f64 v[32:33], v[32:33], v[54:55], v[12:13]
	s_waitcnt lgkmcnt(12)
	v_mul_f64 v[12:13], v[36:37], v[44:45]
	v_fma_f64 v[30:31], v[34:35], v[42:43], -v[12:13]
	v_mul_f64 v[12:13], v[34:35], v[44:45]
	v_fma_f64 v[34:35], v[36:37], v[42:43], v[12:13]
	v_mul_u32_u24_sdwa v12, v244, v15 dst_sel:DWORD dst_unused:UNUSED_PAD src0_sel:WORD_0 src1_sel:DWORD
	v_lshrrev_b32_e32 v46, 17, v12
	v_mul_lo_u16 v12, v46, 3
	v_sub_nc_u16 v47, v244, v12
	v_lshlrev_b16 v12, 1, v47
	v_lshlrev_b32_sdwa v12, v255, v12 dst_sel:DWORD dst_unused:UNUSED_PAD src0_sel:DWORD src1_sel:WORD_0
	s_clause 0x1
	global_load_dwordx4 v[42:45], v12, s[10:11] offset:16
	global_load_dwordx4 v[54:57], v12, s[10:11]
	s_waitcnt vmcnt(0)
	buffer_store_dword v54, off, s[24:27], 0 offset:304 ; 4-byte Folded Spill
	buffer_store_dword v55, off, s[24:27], 0 offset:308 ; 4-byte Folded Spill
	;; [unrolled: 1-line block ×4, first 2 shown]
	s_waitcnt lgkmcnt(10)
	v_mul_f64 v[12:13], v[78:79], v[56:57]
	v_fma_f64 v[36:37], v[76:77], v[54:55], -v[12:13]
	v_mul_f64 v[12:13], v[76:77], v[56:57]
	v_fma_f64 v[12:13], v[78:79], v[54:55], v[12:13]
	v_mov_b32_e32 v57, v45
	v_mov_b32_e32 v56, v44
	;; [unrolled: 1-line block ×4, first 2 shown]
	v_mul_u32_u24_sdwa v44, v253, v15 dst_sel:DWORD dst_unused:UNUSED_PAD src0_sel:WORD_0 src1_sel:DWORD
	buffer_store_dword v54, off, s[24:27], 0 offset:320 ; 4-byte Folded Spill
	buffer_store_dword v55, off, s[24:27], 0 offset:324 ; 4-byte Folded Spill
	;; [unrolled: 1-line block ×4, first 2 shown]
	v_lshrrev_b32_e32 v49, 17, v44
	v_mul_lo_u16 v44, v49, 3
	v_sub_nc_u16 v50, v253, v44
	v_lshlrev_b16 v44, 1, v50
	v_lshlrev_b32_sdwa v44, v255, v44 dst_sel:DWORD dst_unused:UNUSED_PAD src0_sel:DWORD src1_sel:WORD_0
	s_clause 0x1
	global_load_dwordx4 v[60:63], v44, s[10:11] offset:16
	global_load_dwordx4 v[64:67], v44, s[10:11]
	s_waitcnt vmcnt(0)
	buffer_store_dword v64, off, s[24:27], 0 offset:352 ; 4-byte Folded Spill
	buffer_store_dword v65, off, s[24:27], 0 offset:356 ; 4-byte Folded Spill
	;; [unrolled: 1-line block ×8, first 2 shown]
	s_waitcnt lgkmcnt(9)
	v_mul_f64 v[38:39], v[82:83], v[56:57]
	v_mul_f64 v[42:43], v[80:81], v[56:57]
	v_fma_f64 v[38:39], v[80:81], v[54:55], -v[38:39]
	v_fma_f64 v[42:43], v[82:83], v[54:55], v[42:43]
	s_waitcnt lgkmcnt(7)
	v_mul_f64 v[44:45], v[86:87], v[66:67]
	s_waitcnt lgkmcnt(6)
	v_mul_f64 v[57:58], v[26:27], v[62:63]
	v_mul_f64 v[55:56], v[84:85], v[66:67]
	v_fma_f64 v[44:45], v[84:85], v[64:65], -v[44:45]
	v_fma_f64 v[57:58], v[24:25], v[60:61], -v[57:58]
	v_mul_f64 v[24:25], v[24:25], v[62:63]
	v_fma_f64 v[55:56], v[86:87], v[64:65], v[55:56]
	v_fma_f64 v[60:61], v[26:27], v[60:61], v[24:25]
	v_mul_u32_u24_sdwa v24, v106, v15 dst_sel:DWORD dst_unused:UNUSED_PAD src0_sel:WORD_0 src1_sel:DWORD
	v_mul_u32_u24_sdwa v15, v59, v15 dst_sel:DWORD dst_unused:UNUSED_PAD src0_sel:WORD_0 src1_sel:DWORD
	v_lshrrev_b32_e32 v24, 17, v24
	v_mul_lo_u16 v25, v24, 3
	v_sub_nc_u16 v25, v106, v25
	v_lshlrev_b16 v26, 1, v25
	v_lshlrev_b32_sdwa v26, v255, v26 dst_sel:DWORD dst_unused:UNUSED_PAD src0_sel:DWORD src1_sel:WORD_0
	global_load_dwordx4 v[68:71], v26, s[10:11] offset:16
	s_waitcnt vmcnt(0)
	buffer_store_dword v68, off, s[24:27], 0 offset:384 ; 4-byte Folded Spill
	buffer_store_dword v69, off, s[24:27], 0 offset:388 ; 4-byte Folded Spill
	;; [unrolled: 1-line block ×4, first 2 shown]
	global_load_dwordx4 v[64:67], v26, s[10:11]
	s_waitcnt vmcnt(0)
	buffer_store_dword v64, off, s[24:27], 0 offset:368 ; 4-byte Folded Spill
	buffer_store_dword v65, off, s[24:27], 0 offset:372 ; 4-byte Folded Spill
	buffer_store_dword v66, off, s[24:27], 0 offset:376 ; 4-byte Folded Spill
	buffer_store_dword v67, off, s[24:27], 0 offset:380 ; 4-byte Folded Spill
	s_waitcnt lgkmcnt(4)
	v_mul_f64 v[26:27], v[102:103], v[66:67]
	v_fma_f64 v[62:63], v[100:101], v[64:65], -v[26:27]
	v_mul_f64 v[26:27], v[100:101], v[66:67]
	v_fma_f64 v[64:65], v[102:103], v[64:65], v[26:27]
	s_waitcnt lgkmcnt(3)
	v_mul_f64 v[26:27], v[22:23], v[70:71]
	v_fma_f64 v[66:67], v[20:21], v[68:69], -v[26:27]
	v_mul_f64 v[20:21], v[20:21], v[70:71]
	v_fma_f64 v[21:22], v[22:23], v[68:69], v[20:21]
	v_lshrrev_b32_e32 v20, 17, v15
	v_mul_lo_u16 v15, v20, 3
	v_sub_nc_u16 v15, v59, v15
	v_lshlrev_b16 v23, 1, v15
	v_lshlrev_b32_sdwa v23, v255, v23 dst_sel:DWORD dst_unused:UNUSED_PAD src0_sel:DWORD src1_sel:WORD_0
	s_clause 0x1
	global_load_dwordx4 v[72:75], v23, s[10:11] offset:16
	global_load_dwordx4 v[76:79], v23, s[10:11]
	s_waitcnt vmcnt(0)
	buffer_store_dword v76, off, s[24:27], 0 offset:448 ; 4-byte Folded Spill
	buffer_store_dword v77, off, s[24:27], 0 offset:452 ; 4-byte Folded Spill
	;; [unrolled: 1-line block ×4, first 2 shown]
	s_waitcnt lgkmcnt(1)
	v_mul_f64 v[26:27], v[98:99], v[78:79]
	v_fma_f64 v[68:69], v[96:97], v[76:77], -v[26:27]
	v_mul_f64 v[26:27], v[96:97], v[78:79]
	v_fma_f64 v[70:71], v[98:99], v[76:77], v[26:27]
	v_mov_b32_e32 v77, v75
	v_mov_b32_e32 v76, v74
	v_mov_b32_e32 v75, v73
	v_mov_b32_e32 v74, v72
	buffer_store_dword v74, off, s[24:27], 0 offset:468 ; 4-byte Folded Spill
	buffer_store_dword v75, off, s[24:27], 0 offset:472 ; 4-byte Folded Spill
	;; [unrolled: 1-line block ×4, first 2 shown]
	s_waitcnt lgkmcnt(0)
	s_waitcnt_vscnt null, 0x0
	s_barrier
	buffer_gl0_inv
	v_mul_f64 v[26:27], v[94:95], v[76:77]
	v_fma_f64 v[72:73], v[92:93], v[74:75], -v[26:27]
	v_mul_f64 v[26:27], v[92:93], v[76:77]
	v_add_f64 v[76:77], v[32:33], -v[34:35]
	v_fma_f64 v[74:75], v[94:95], v[74:75], v[26:27]
	v_add_f64 v[26:27], v[16:17], v[28:29]
	v_add_f64 v[92:93], v[26:27], v[30:31]
	;; [unrolled: 1-line block ×3, first 2 shown]
	v_add_f64 v[28:29], v[28:29], -v[30:31]
	v_add_f64 v[30:31], v[112:113], v[36:37]
	v_fma_f64 v[26:27], v[26:27], -0.5, v[16:17]
	v_add_f64 v[30:31], v[30:31], v[38:39]
	v_fma_f64 v[16:17], v[76:77], s[2:3], v[26:27]
	v_fma_f64 v[26:27], v[76:77], s[4:5], v[26:27]
	v_add_f64 v[76:77], v[18:19], v[32:33]
	v_add_f64 v[32:33], v[32:33], v[34:35]
	;; [unrolled: 1-line block ×3, first 2 shown]
	v_fma_f64 v[32:33], v[32:33], -0.5, v[18:19]
	v_add_f64 v[76:77], v[12:13], -v[42:43]
	v_fma_f64 v[18:19], v[28:29], s[4:5], v[32:33]
	v_fma_f64 v[28:29], v[28:29], s[2:3], v[32:33]
	v_add_f64 v[32:33], v[36:37], v[38:39]
	v_add_f64 v[38:39], v[36:37], -v[38:39]
	v_fma_f64 v[32:33], v[32:33], -0.5, v[112:113]
	v_fma_f64 v[34:35], v[76:77], s[2:3], v[32:33]
	v_fma_f64 v[96:97], v[76:77], s[4:5], v[32:33]
	v_add_f64 v[32:33], v[114:115], v[12:13]
	v_add_f64 v[12:13], v[12:13], v[42:43]
	;; [unrolled: 1-line block ×3, first 2 shown]
	v_fma_f64 v[12:13], v[12:13], -0.5, v[114:115]
	v_fma_f64 v[36:37], v[38:39], s[4:5], v[12:13]
	v_fma_f64 v[98:99], v[38:39], s[2:3], v[12:13]
	v_add_f64 v[12:13], v[8:9], v[44:45]
	v_add_f64 v[38:39], v[55:56], -v[60:61]
	v_add_f64 v[100:101], v[12:13], v[57:58]
	v_add_f64 v[12:13], v[44:45], v[57:58]
	v_fma_f64 v[12:13], v[12:13], -0.5, v[8:9]
	v_fma_f64 v[8:9], v[38:39], s[2:3], v[12:13]
	v_fma_f64 v[112:113], v[38:39], s[4:5], v[12:13]
	v_add_f64 v[12:13], v[10:11], v[55:56]
	v_add_f64 v[38:39], v[44:45], -v[57:58]
	v_add_f64 v[102:103], v[12:13], v[60:61]
	v_add_f64 v[12:13], v[55:56], v[60:61]
	v_fma_f64 v[12:13], v[12:13], -0.5, v[10:11]
	v_fma_f64 v[10:11], v[38:39], s[4:5], v[12:13]
	v_fma_f64 v[114:115], v[38:39], s[2:3], v[12:13]
	v_add_f64 v[12:13], v[4:5], v[62:63]
	v_add_f64 v[38:39], v[64:65], -v[21:22]
	v_add_f64 v[116:117], v[12:13], v[66:67]
	v_add_f64 v[12:13], v[62:63], v[66:67]
	v_fma_f64 v[12:13], v[12:13], -0.5, v[4:5]
	v_fma_f64 v[4:5], v[38:39], s[2:3], v[12:13]
	v_fma_f64 v[120:121], v[38:39], s[4:5], v[12:13]
	v_add_f64 v[12:13], v[6:7], v[64:65]
	v_add_f64 v[118:119], v[12:13], v[21:22]
	;; [unrolled: 1-line block ×3, first 2 shown]
	v_add_f64 v[21:22], v[62:63], -v[66:67]
	v_fma_f64 v[12:13], v[12:13], -0.5, v[6:7]
	v_fma_f64 v[6:7], v[21:22], s[4:5], v[12:13]
	v_fma_f64 v[122:123], v[21:22], s[2:3], v[12:13]
	v_add_f64 v[12:13], v[0:1], v[68:69]
	v_add_f64 v[21:22], v[70:71], -v[74:75]
	v_add_f64 v[124:125], v[12:13], v[72:73]
	v_add_f64 v[12:13], v[68:69], v[72:73]
	v_fma_f64 v[12:13], v[12:13], -0.5, v[0:1]
	v_fma_f64 v[0:1], v[21:22], s[2:3], v[12:13]
	v_fma_f64 v[128:129], v[21:22], s[4:5], v[12:13]
	v_add_f64 v[12:13], v[2:3], v[70:71]
	v_add_f64 v[21:22], v[68:69], -v[72:73]
	v_add_f64 v[126:127], v[12:13], v[74:75]
	v_add_f64 v[12:13], v[70:71], v[74:75]
	v_fma_f64 v[12:13], v[12:13], -0.5, v[2:3]
	v_fma_f64 v[2:3], v[21:22], s[4:5], v[12:13]
	v_fma_f64 v[130:131], v[21:22], s[2:3], v[12:13]
	v_mov_b32_e32 v12, 9
	v_mul_u32_u24_sdwa v12, v40, v12 dst_sel:DWORD dst_unused:UNUSED_PAD src0_sel:WORD_0 src1_sel:DWORD
	v_add_lshl_u32 v12, v12, v41, 4
	buffer_store_dword v12, off, s[24:27], 0 offset:488 ; 4-byte Folded Spill
	ds_write_b128 v12, v[92:95]
	ds_write_b128 v12, v[16:19] offset:48
	ds_write_b128 v12, v[26:29] offset:96
	v_mad_u16 v12, v46, 9, v47
	v_lshlrev_b32_sdwa v12, v255, v12 dst_sel:DWORD dst_unused:UNUSED_PAD src0_sel:DWORD src1_sel:WORD_0
	buffer_store_dword v12, off, s[24:27], 0 offset:464 ; 4-byte Folded Spill
	ds_write_b128 v12, v[30:33]
	ds_write_b128 v12, v[34:37] offset:48
	ds_write_b128 v12, v[96:99] offset:96
	v_mad_u16 v12, v49, 9, v50
	v_lshlrev_b32_sdwa v12, v255, v12 dst_sel:DWORD dst_unused:UNUSED_PAD src0_sel:DWORD src1_sel:WORD_0
	ds_write_b128 v12, v[100:103]
	ds_write_b128 v12, v[8:11] offset:48
	ds_write_b128 v12, v[112:115] offset:96
	v_mov_b32_e32 v103, v12
	v_mul_lo_u16 v12, v48, 57
	v_mad_u16 v8, v24, 9, v25
	v_lshrrev_b16 v46, 9, v12
	v_lshlrev_b32_sdwa v100, v255, v8 dst_sel:DWORD dst_unused:UNUSED_PAD src0_sel:DWORD src1_sel:WORD_0
	ds_write_b128 v100, v[116:119]
	ds_write_b128 v100, v[4:7] offset:48
	ds_write_b128 v100, v[120:123] offset:96
	v_mul_lo_u16 v12, v46, 9
	v_mad_u16 v4, v20, 9, v15
	v_mov_b32_e32 v15, 0xe38f
	v_sub_nc_u16 v12, v254, v12
	v_lshlrev_b32_sdwa v99, v255, v4 dst_sel:DWORD dst_unused:UNUSED_PAD src0_sel:DWORD src1_sel:WORD_0
	ds_write_b128 v99, v[124:127]
	ds_write_b128 v99, v[0:3] offset:48
	ds_write_b128 v99, v[128:131] offset:96
	v_and_b32_e32 v47, 0xff, v12
	s_waitcnt lgkmcnt(0)
	s_waitcnt_vscnt null, 0x0
	s_barrier
	buffer_gl0_inv
	ds_read_b128 v[128:131], v52
	ds_read_b128 v[24:27], v52 offset:6480
	ds_read_b128 v[28:31], v52 offset:12960
	;; [unrolled: 1-line block ×14, first 2 shown]
	v_lshlrev_b32_e32 v12, 6, v47
	s_clause 0x3
	global_load_dwordx4 v[54:57], v12, s[10:11] offset:144
	global_load_dwordx4 v[60:63], v12, s[10:11] offset:128
	;; [unrolled: 1-line block ×4, first 2 shown]
	s_waitcnt vmcnt(1)
	buffer_store_dword v64, off, s[24:27], 0 offset:432 ; 4-byte Folded Spill
	buffer_store_dword v65, off, s[24:27], 0 offset:436 ; 4-byte Folded Spill
	;; [unrolled: 1-line block ×8, first 2 shown]
	s_waitcnt vmcnt(0) lgkmcnt(13)
	v_mul_f64 v[12:13], v[26:27], v[114:115]
	v_fma_f64 v[12:13], v[24:25], v[112:113], -v[12:13]
	v_mul_f64 v[24:25], v[24:25], v[114:115]
	v_fma_f64 v[24:25], v[26:27], v[112:113], v[24:25]
	s_waitcnt lgkmcnt(12)
	v_mul_f64 v[26:27], v[30:31], v[66:67]
	v_fma_f64 v[42:43], v[28:29], v[64:65], -v[26:27]
	v_mul_f64 v[26:27], v[28:29], v[66:67]
	v_fma_f64 v[28:29], v[30:31], v[64:65], v[26:27]
	s_waitcnt lgkmcnt(11)
	v_mul_f64 v[26:27], v[34:35], v[62:63]
	v_fma_f64 v[44:45], v[32:33], v[60:61], -v[26:27]
	v_mul_f64 v[26:27], v[32:33], v[62:63]
	v_fma_f64 v[26:27], v[34:35], v[60:61], v[26:27]
	v_mov_b32_e32 v32, v54
	v_mov_b32_e32 v33, v55
	;; [unrolled: 1-line block ×4, first 2 shown]
	buffer_store_dword v32, off, s[24:27], 0 offset:400 ; 4-byte Folded Spill
	buffer_store_dword v33, off, s[24:27], 0 offset:404 ; 4-byte Folded Spill
	;; [unrolled: 1-line block ×4, first 2 shown]
	s_waitcnt lgkmcnt(10)
	v_mul_f64 v[30:31], v[118:119], v[34:35]
	v_fma_f64 v[55:56], v[116:117], v[32:33], -v[30:31]
	v_mul_f64 v[30:31], v[116:117], v[34:35]
	v_add_f64 v[57:58], v[44:45], -v[55:56]
	v_fma_f64 v[30:31], v[118:119], v[32:33], v[30:31]
	v_mul_u32_u24_sdwa v32, v244, v15 dst_sel:DWORD dst_unused:UNUSED_PAD src0_sel:WORD_0 src1_sel:DWORD
	v_mul_u32_u24_sdwa v15, v253, v15 dst_sel:DWORD dst_unused:UNUSED_PAD src0_sel:WORD_0 src1_sel:DWORD
	v_lshrrev_b32_e32 v49, 19, v32
	v_lshrrev_b32_e32 v51, 19, v15
	v_mul_lo_u16 v32, v49, 9
	v_mul_lo_u16 v15, v51, 9
	v_sub_nc_u16 v50, v244, v32
	v_sub_nc_u16 v174, v253, v15
	v_lshlrev_b16 v32, 6, v50
	v_lshlrev_b16 v15, 6, v174
	v_and_b32_e32 v32, 0xffff, v32
	v_and_b32_e32 v15, 0xffff, v15
	v_add_co_u32 v32, s6, s10, v32
	v_add_co_ci_u32_e64 v33, null, s11, 0, s6
	s_clause 0x3
	global_load_dwordx4 v[108:111], v[32:33], off offset:144
	global_load_dwordx4 v[95:98], v[32:33], off offset:128
	;; [unrolled: 1-line block ×4, first 2 shown]
	s_waitcnt vmcnt(0) lgkmcnt(8)
	v_mul_f64 v[32:33], v[134:135], v[142:143]
	v_fma_f64 v[162:163], v[132:133], v[140:141], -v[32:33]
	v_mul_f64 v[32:33], v[132:133], v[142:143]
	v_fma_f64 v[138:139], v[134:135], v[140:141], v[32:33]
	s_waitcnt lgkmcnt(7)
	v_mul_f64 v[32:33], v[146:147], v[93:94]
	v_fma_f64 v[164:165], v[144:145], v[91:92], -v[32:33]
	v_mul_f64 v[32:33], v[144:145], v[93:94]
	v_fma_f64 v[154:155], v[146:147], v[91:92], v[32:33]
	s_waitcnt lgkmcnt(6)
	v_mul_f64 v[32:33], v[150:151], v[97:98]
	v_fma_f64 v[166:167], v[148:149], v[95:96], -v[32:33]
	v_mul_f64 v[32:33], v[148:149], v[97:98]
	v_fma_f64 v[152:153], v[150:151], v[95:96], v[32:33]
	s_waitcnt lgkmcnt(5)
	v_mul_f64 v[32:33], v[158:159], v[110:111]
	v_fma_f64 v[172:173], v[156:157], v[108:109], -v[32:33]
	v_mul_f64 v[32:33], v[156:157], v[110:111]
	v_fma_f64 v[160:161], v[158:159], v[108:109], v[32:33]
	v_add_co_u32 v32, s6, s10, v15
	v_add_co_ci_u32_e64 v33, null, s11, 0, s6
	s_clause 0x3
	global_load_dwordx4 v[156:159], v[32:33], off offset:144
	global_load_dwordx4 v[168:171], v[32:33], off offset:128
	;; [unrolled: 1-line block ×4, first 2 shown]
	s_mov_b32 s6, 0x134454ff
	s_mov_b32 s7, 0x3fee6f0e
	;; [unrolled: 1-line block ×3, first 2 shown]
	s_waitcnt vmcnt(0) lgkmcnt(0)
	s_waitcnt_vscnt null, 0x0
	s_barrier
	buffer_gl0_inv
	v_mul_f64 v[32:33], v[22:23], v[190:191]
	v_fma_f64 v[144:145], v[20:21], v[188:189], -v[32:33]
	v_mul_f64 v[20:21], v[20:21], v[190:191]
	v_fma_f64 v[32:33], v[22:23], v[188:189], v[20:21]
	v_mul_f64 v[20:21], v[18:19], v[178:179]
	v_add_f64 v[22:23], v[12:13], -v[42:43]
	v_fma_f64 v[146:147], v[16:17], v[176:177], -v[20:21]
	v_mul_f64 v[15:16], v[16:17], v[178:179]
	v_add_f64 v[20:21], v[28:29], -v[26:27]
	v_fma_f64 v[36:37], v[18:19], v[176:177], v[15:16]
	v_mul_f64 v[15:16], v[40:41], v[170:171]
	v_add_f64 v[18:19], v[24:25], -v[30:31]
	v_fma_f64 v[148:149], v[38:39], v[168:169], -v[15:16]
	v_mul_f64 v[15:16], v[38:39], v[170:171]
	v_fma_f64 v[34:35], v[40:41], v[168:169], v[15:16]
	v_mul_f64 v[15:16], v[10:11], v[158:159]
	v_add_f64 v[40:41], v[55:56], -v[44:45]
	v_fma_f64 v[150:151], v[8:9], v[156:157], -v[15:16]
	v_mul_f64 v[8:9], v[8:9], v[158:159]
	v_add_f64 v[22:23], v[22:23], v[40:41]
	v_add_f64 v[40:41], v[42:43], -v[12:13]
	v_fma_f64 v[38:39], v[10:11], v[156:157], v[8:9]
	v_add_f64 v[10:11], v[42:43], v[44:45]
	v_add_f64 v[8:9], v[128:129], v[12:13]
	;; [unrolled: 1-line block ×3, first 2 shown]
	v_add_f64 v[57:58], v[150:151], -v[148:149]
	v_fma_f64 v[10:11], v[10:11], -0.5, v[128:129]
	v_add_f64 v[8:9], v[8:9], v[42:43]
	v_fma_f64 v[15:16], v[18:19], s[6:7], v[10:11]
	v_fma_f64 v[10:11], v[18:19], s[18:19], v[10:11]
	v_add_f64 v[8:9], v[8:9], v[44:45]
	v_fma_f64 v[15:16], v[20:21], s[8:9], v[15:16]
	v_fma_f64 v[10:11], v[20:21], s[16:17], v[10:11]
	;; [unrolled: 3-line block ×3, first 2 shown]
	v_add_f64 v[10:11], v[12:13], v[55:56]
	v_add_f64 v[12:13], v[12:13], -v[55:56]
	v_add_f64 v[55:56], v[152:153], -v[160:161]
	v_fma_f64 v[10:11], v[10:11], -0.5, v[128:129]
	v_fma_f64 v[22:23], v[20:21], s[18:19], v[10:11]
	v_fma_f64 v[10:11], v[20:21], s[6:7], v[10:11]
	;; [unrolled: 1-line block ×4, first 2 shown]
	v_add_f64 v[18:19], v[28:29], v[26:27]
	v_fma_f64 v[132:133], v[40:41], s[14:15], v[22:23]
	v_fma_f64 v[128:129], v[40:41], s[14:15], v[10:11]
	v_fma_f64 v[20:21], v[18:19], -0.5, v[130:131]
	v_add_f64 v[22:23], v[42:43], -v[44:45]
	v_add_f64 v[40:41], v[24:25], -v[28:29]
	;; [unrolled: 1-line block ×3, first 2 shown]
	v_add_f64 v[10:11], v[130:131], v[24:25]
	v_add_f64 v[44:45], v[160:161], -v[152:153]
	v_fma_f64 v[18:19], v[12:13], s[18:19], v[20:21]
	v_fma_f64 v[20:21], v[12:13], s[6:7], v[20:21]
	v_add_f64 v[40:41], v[40:41], v[42:43]
	v_add_f64 v[10:11], v[10:11], v[28:29]
	v_add_f64 v[42:43], v[164:165], -v[166:167]
	v_fma_f64 v[18:19], v[22:23], s[16:17], v[18:19]
	v_fma_f64 v[20:21], v[22:23], s[8:9], v[20:21]
	v_add_f64 v[10:11], v[10:11], v[26:27]
	v_add_f64 v[26:27], v[26:27], -v[30:31]
	v_fma_f64 v[18:19], v[40:41], s[14:15], v[18:19]
	v_fma_f64 v[182:183], v[40:41], s[14:15], v[20:21]
	v_add_f64 v[20:21], v[24:25], v[30:31]
	v_add_f64 v[24:25], v[28:29], -v[24:25]
	v_add_f64 v[10:11], v[10:11], v[30:31]
	v_add_f64 v[28:29], v[162:163], -v[164:165]
	v_add_f64 v[30:31], v[172:173], -v[166:167]
	v_fma_f64 v[20:21], v[20:21], -0.5, v[130:131]
	v_add_f64 v[24:25], v[24:25], v[26:27]
	v_add_f64 v[26:27], v[154:155], -v[152:153]
	v_add_f64 v[30:31], v[28:29], v[30:31]
	v_fma_f64 v[40:41], v[22:23], s[6:7], v[20:21]
	v_fma_f64 v[20:21], v[22:23], s[18:19], v[20:21]
	v_add_f64 v[22:23], v[138:139], -v[160:161]
	v_fma_f64 v[40:41], v[12:13], s[16:17], v[40:41]
	v_fma_f64 v[12:13], v[12:13], s[8:9], v[20:21]
	;; [unrolled: 1-line block ×4, first 2 shown]
	v_add_f64 v[12:13], v[4:5], v[162:163]
	v_add_f64 v[40:41], v[166:167], -v[172:173]
	v_add_f64 v[12:13], v[12:13], v[164:165]
	v_add_f64 v[12:13], v[12:13], v[166:167]
	v_add_f64 v[20:21], v[12:13], v[172:173]
	v_add_f64 v[12:13], v[164:165], v[166:167]
	v_fma_f64 v[12:13], v[12:13], -0.5, v[4:5]
	v_fma_f64 v[24:25], v[22:23], s[6:7], v[12:13]
	v_fma_f64 v[12:13], v[22:23], s[18:19], v[12:13]
	;; [unrolled: 1-line block ×6, first 2 shown]
	v_add_f64 v[12:13], v[162:163], v[172:173]
	v_add_f64 v[30:31], v[164:165], -v[162:163]
	v_fma_f64 v[4:5], v[12:13], -0.5, v[4:5]
	v_add_f64 v[30:31], v[30:31], v[40:41]
	v_add_f64 v[40:41], v[162:163], -v[172:173]
	v_fma_f64 v[12:13], v[26:27], s[18:19], v[4:5]
	v_fma_f64 v[4:5], v[26:27], s[6:7], v[4:5]
	;; [unrolled: 1-line block ×5, first 2 shown]
	v_add_f64 v[12:13], v[6:7], v[138:139]
	v_fma_f64 v[4:5], v[30:31], s[14:15], v[4:5]
	v_add_f64 v[30:31], v[138:139], -v[154:155]
	v_add_f64 v[12:13], v[12:13], v[154:155]
	v_add_f64 v[44:45], v[30:31], v[44:45]
	v_add_f64 v[12:13], v[12:13], v[152:153]
	v_add_f64 v[22:23], v[12:13], v[160:161]
	v_add_f64 v[12:13], v[154:155], v[152:153]
	v_fma_f64 v[12:13], v[12:13], -0.5, v[6:7]
	v_fma_f64 v[26:27], v[40:41], s[18:19], v[12:13]
	v_fma_f64 v[12:13], v[40:41], s[6:7], v[12:13]
	;; [unrolled: 1-line block ×6, first 2 shown]
	v_add_f64 v[12:13], v[138:139], v[160:161]
	v_add_f64 v[44:45], v[154:155], -v[138:139]
	v_fma_f64 v[6:7], v[12:13], -0.5, v[6:7]
	v_add_f64 v[44:45], v[44:45], v[55:56]
	v_add_f64 v[55:56], v[144:145], -v[146:147]
	v_fma_f64 v[12:13], v[42:43], s[6:7], v[6:7]
	v_fma_f64 v[6:7], v[42:43], s[18:19], v[6:7]
	v_add_f64 v[55:56], v[55:56], v[57:58]
	v_add_f64 v[57:58], v[38:39], -v[34:35]
	v_fma_f64 v[12:13], v[40:41], s[16:17], v[12:13]
	v_fma_f64 v[6:7], v[40:41], s[8:9], v[6:7]
	v_add_f64 v[40:41], v[32:33], -v[38:39]
	v_fma_f64 v[138:139], v[44:45], s[14:15], v[12:13]
	v_add_f64 v[12:13], v[0:1], v[144:145]
	v_fma_f64 v[6:7], v[44:45], s[14:15], v[6:7]
	v_add_f64 v[44:45], v[36:37], -v[34:35]
	v_add_f64 v[12:13], v[12:13], v[146:147]
	v_add_f64 v[12:13], v[12:13], v[148:149]
	;; [unrolled: 1-line block ×4, first 2 shown]
	v_fma_f64 v[12:13], v[12:13], -0.5, v[0:1]
	v_fma_f64 v[42:43], v[40:41], s[6:7], v[12:13]
	v_fma_f64 v[12:13], v[40:41], s[18:19], v[12:13]
	;; [unrolled: 1-line block ×6, first 2 shown]
	v_add_f64 v[12:13], v[144:145], v[150:151]
	v_add_f64 v[42:43], v[146:147], -v[144:145]
	v_add_f64 v[55:56], v[148:149], -v[150:151]
	v_fma_f64 v[12:13], v[12:13], -0.5, v[0:1]
	v_add_f64 v[42:43], v[42:43], v[55:56]
	v_add_f64 v[55:56], v[32:33], -v[36:37]
	v_fma_f64 v[0:1], v[44:45], s[18:19], v[12:13]
	v_fma_f64 v[12:13], v[44:45], s[6:7], v[12:13]
	v_add_f64 v[44:45], v[146:147], -v[148:149]
	v_add_f64 v[55:56], v[55:56], v[57:58]
	v_fma_f64 v[0:1], v[40:41], s[8:9], v[0:1]
	v_fma_f64 v[12:13], v[40:41], s[16:17], v[12:13]
	v_add_f64 v[40:41], v[144:145], -v[150:151]
	v_fma_f64 v[0:1], v[42:43], s[14:15], v[0:1]
	v_fma_f64 v[184:185], v[42:43], s[14:15], v[12:13]
	v_add_f64 v[12:13], v[2:3], v[32:33]
	v_add_f64 v[12:13], v[12:13], v[36:37]
	;; [unrolled: 1-line block ×5, first 2 shown]
	v_add_f64 v[34:35], v[34:35], -v[38:39]
	v_fma_f64 v[12:13], v[12:13], -0.5, v[2:3]
	v_fma_f64 v[42:43], v[40:41], s[18:19], v[12:13]
	v_fma_f64 v[12:13], v[40:41], s[6:7], v[12:13]
	;; [unrolled: 1-line block ×6, first 2 shown]
	v_add_f64 v[12:13], v[32:33], v[38:39]
	v_add_f64 v[32:33], v[36:37], -v[32:33]
	v_fma_f64 v[12:13], v[12:13], -0.5, v[2:3]
	v_add_f64 v[32:33], v[32:33], v[34:35]
	v_fma_f64 v[2:3], v[44:45], s[6:7], v[12:13]
	v_fma_f64 v[12:13], v[44:45], s[18:19], v[12:13]
	;; [unrolled: 1-line block ×6, first 2 shown]
	v_mov_b32_e32 v12, 45
	v_mul_u32_u24_sdwa v12, v46, v12 dst_sel:DWORD dst_unused:UNUSED_PAD src0_sel:WORD_0 src1_sel:DWORD
	v_add_lshl_u32 v12, v12, v47, 4
	buffer_store_dword v12, off, s[24:27], 0 offset:536 ; 4-byte Folded Spill
	ds_write_b128 v12, v[8:11]
	ds_write_b128 v12, v[16:19] offset:144
	ds_write_b128 v12, v[132:135] offset:288
	;; [unrolled: 1-line block ×4, first 2 shown]
	v_mul_lo_u16 v12, 0x6d, v48
	v_mad_u16 v8, v49, 45, v50
	v_lshrrev_b16 v12, 8, v12
	v_lshlrev_b32_sdwa v8, v255, v8 dst_sel:DWORD dst_unused:UNUSED_PAD src0_sel:DWORD src1_sel:WORD_0
	v_sub_nc_u16 v13, v254, v12
	buffer_store_dword v8, off, s[24:27], 0 offset:532 ; 4-byte Folded Spill
	ds_write_b128 v8, v[20:23]
	ds_write_b128 v8, v[28:31] offset:144
	ds_write_b128 v8, v[136:139] offset:288
	;; [unrolled: 1-line block ×4, first 2 shown]
	v_mad_u16 v4, v51, 45, v174
	v_lshrrev_b16 v13, 1, v13
	v_lshlrev_b32_sdwa v4, v255, v4 dst_sel:DWORD dst_unused:UNUSED_PAD src0_sel:DWORD src1_sel:WORD_0
	v_and_b32_e32 v13, 0x7f, v13
	buffer_store_dword v4, off, s[24:27], 0 offset:484 ; 4-byte Folded Spill
	ds_write_b128 v4, v[152:155]
	ds_write_b128 v4, v[160:163] offset:144
	ds_write_b128 v4, v[0:3] offset:288
	ds_write_b128 v4, v[184:187] offset:432
	ds_write_b128 v4, v[164:167] offset:576
	v_add_nc_u16 v12, v13, v12
	s_waitcnt lgkmcnt(0)
	s_waitcnt_vscnt null, 0x0
	s_barrier
	buffer_gl0_inv
	ds_read_b128 v[18:21], v52
	ds_read_b128 v[8:11], v52 offset:6480
	ds_read_b128 v[22:25], v52 offset:12960
	ds_read_b128 v[26:29], v52 offset:19440
	ds_read_b128 v[30:33], v52 offset:25920
	ds_read_b128 v[4:7], v52 offset:2160
	ds_read_b128 v[34:37], v52 offset:8640
	ds_read_b128 v[144:147], v52 offset:15120
	ds_read_b128 v[148:151], v52 offset:21600
	ds_read_b128 v[184:187], v52 offset:28080
	ds_read_b128 v[0:3], v52 offset:4320
	ds_read_b128 v[196:199], v52 offset:10800
	ds_read_b128 v[218:221], v52 offset:17280
	ds_read_b128 v[228:231], v52 offset:23760
	ds_read_b128 v[232:235], v52 offset:30240
	v_lshrrev_b16 v40, 5, v12
	v_mul_lo_u16 v12, v40, 45
	v_sub_nc_u16 v12, v254, v12
	v_and_b32_e32 v41, 0xff, v12
	v_lshlrev_b32_e32 v12, 6, v41
	s_clause 0x3
	global_load_dwordx4 v[46:49], v12, s[10:11] offset:720
	global_load_dwordx4 v[54:57], v12, s[10:11] offset:704
	global_load_dwordx4 v[136:139], v12, s[10:11] offset:688
	global_load_dwordx4 v[152:155], v12, s[10:11] offset:672
	s_waitcnt vmcnt(2)
	buffer_store_dword v54, off, s[24:27], 0 offset:496 ; 4-byte Folded Spill
	buffer_store_dword v55, off, s[24:27], 0 offset:500 ; 4-byte Folded Spill
	buffer_store_dword v56, off, s[24:27], 0 offset:504 ; 4-byte Folded Spill
	buffer_store_dword v57, off, s[24:27], 0 offset:508 ; 4-byte Folded Spill
	buffer_store_dword v46, off, s[24:27], 0 offset:512 ; 4-byte Folded Spill
	buffer_store_dword v47, off, s[24:27], 0 offset:516 ; 4-byte Folded Spill
	buffer_store_dword v48, off, s[24:27], 0 offset:520 ; 4-byte Folded Spill
	buffer_store_dword v49, off, s[24:27], 0 offset:524 ; 4-byte Folded Spill
	s_waitcnt vmcnt(0) lgkmcnt(13)
	v_mul_f64 v[12:13], v[10:11], v[154:155]
	v_fma_f64 v[12:13], v[8:9], v[152:153], -v[12:13]
	v_mul_f64 v[8:9], v[8:9], v[154:155]
	v_fma_f64 v[42:43], v[10:11], v[152:153], v[8:9]
	s_waitcnt lgkmcnt(12)
	v_mul_f64 v[8:9], v[24:25], v[138:139]
	v_mov_b32_e32 v10, 0x2d83
	v_fma_f64 v[44:45], v[22:23], v[136:137], -v[8:9]
	v_mul_f64 v[8:9], v[22:23], v[138:139]
	v_add_f64 v[66:67], v[12:13], -v[44:45]
	v_fma_f64 v[22:23], v[24:25], v[136:137], v[8:9]
	s_waitcnt lgkmcnt(11)
	v_mul_f64 v[8:9], v[28:29], v[56:57]
	v_fma_f64 v[24:25], v[26:27], v[54:55], -v[8:9]
	v_mul_f64 v[8:9], v[26:27], v[56:57]
	v_fma_f64 v[26:27], v[28:29], v[54:55], v[8:9]
	s_waitcnt lgkmcnt(10)
	v_mul_f64 v[8:9], v[32:33], v[48:49]
	v_add_f64 v[64:65], v[22:23], -v[26:27]
	v_fma_f64 v[28:29], v[30:31], v[46:47], -v[8:9]
	v_mul_f64 v[8:9], v[30:31], v[48:49]
	v_add_f64 v[81:82], v[28:29], -v[24:25]
	v_fma_f64 v[30:31], v[32:33], v[46:47], v[8:9]
	v_mul_u32_u24_sdwa v8, v244, v10 dst_sel:DWORD dst_unused:UNUSED_PAD src0_sel:WORD_0 src1_sel:DWORD
	v_lshrrev_b32_e32 v48, 19, v8
	v_mul_lo_u16 v8, v48, 45
	v_sub_nc_u16 v49, v244, v8
	v_lshlrev_b16 v8, 6, v49
	v_add_f64 v[62:63], v[42:43], -v[30:31]
	v_add_f64 v[66:67], v[66:67], v[81:82]
	v_add_f64 v[81:82], v[24:25], -v[28:29]
	v_and_b32_e32 v8, 0xffff, v8
	v_add_co_u32 v8, s20, s10, v8
	v_add_co_ci_u32_e64 v9, null, s11, 0, s20
	s_clause 0x3
	global_load_dwordx4 v[160:163], v[8:9], off offset:720
	global_load_dwordx4 v[164:167], v[8:9], off offset:704
	;; [unrolled: 1-line block ×4, first 2 shown]
	s_waitcnt vmcnt(0) lgkmcnt(8)
	v_mul_f64 v[8:9], v[36:37], v[194:195]
	v_fma_f64 v[46:47], v[34:35], v[192:193], -v[8:9]
	v_mul_f64 v[8:9], v[34:35], v[194:195]
	v_fma_f64 v[174:175], v[36:37], v[192:193], v[8:9]
	s_waitcnt lgkmcnt(7)
	v_mul_f64 v[8:9], v[146:147], v[182:183]
	v_fma_f64 v[55:56], v[144:145], v[180:181], -v[8:9]
	v_mul_f64 v[8:9], v[144:145], v[182:183]
	v_fma_f64 v[202:203], v[146:147], v[180:181], v[8:9]
	s_waitcnt lgkmcnt(6)
	;; [unrolled: 5-line block ×3, first 2 shown]
	v_mul_f64 v[8:9], v[186:187], v[162:163]
	v_fma_f64 v[60:61], v[184:185], v[160:161], -v[8:9]
	v_mul_f64 v[8:9], v[184:185], v[162:163]
	v_fma_f64 v[216:217], v[186:187], v[160:161], v[8:9]
	v_mul_u32_u24_sdwa v8, v253, v10 dst_sel:DWORD dst_unused:UNUSED_PAD src0_sel:WORD_0 src1_sel:DWORD
	v_add_f64 v[10:11], v[44:45], v[24:25]
	v_lshrrev_b32_e32 v51, 19, v8
	v_mul_lo_u16 v8, v51, 45
	v_sub_nc_u16 v222, v253, v8
	v_lshlrev_b16 v8, 6, v222
	v_fma_f64 v[10:11], v[10:11], -0.5, v[18:19]
	v_and_b32_e32 v8, 0xffff, v8
	v_add_co_u32 v8, s20, s10, v8
	v_add_co_ci_u32_e64 v9, null, s11, 0, s20
	s_clause 0x3
	global_load_dwordx4 v[204:207], v[8:9], off offset:720
	global_load_dwordx4 v[208:211], v[8:9], off offset:704
	;; [unrolled: 1-line block ×4, first 2 shown]
	s_waitcnt vmcnt(0) lgkmcnt(0)
	s_waitcnt_vscnt null, 0x0
	s_barrier
	buffer_gl0_inv
	v_fma_f64 v[15:16], v[62:63], s[6:7], v[10:11]
	v_fma_f64 v[10:11], v[62:63], s[18:19], v[10:11]
	;; [unrolled: 1-line block ×5, first 2 shown]
	v_mul_f64 v[8:9], v[198:199], v[226:227]
	v_fma_f64 v[184:185], v[196:197], v[224:225], -v[8:9]
	v_mul_f64 v[8:9], v[196:197], v[226:227]
	v_fma_f64 v[32:33], v[198:199], v[224:225], v[8:9]
	v_mul_f64 v[8:9], v[220:221], v[214:215]
	v_fma_f64 v[186:187], v[218:219], v[212:213], -v[8:9]
	v_mul_f64 v[8:9], v[218:219], v[214:215]
	v_fma_f64 v[218:219], v[66:67], s[14:15], v[10:11]
	v_add_f64 v[10:11], v[12:13], v[28:29]
	v_add_f64 v[66:67], v[44:45], -v[12:13]
	v_fma_f64 v[36:37], v[220:221], v[212:213], v[8:9]
	v_mul_f64 v[8:9], v[230:231], v[210:211]
	v_fma_f64 v[10:11], v[10:11], -0.5, v[18:19]
	v_add_f64 v[66:67], v[66:67], v[81:82]
	v_fma_f64 v[196:197], v[228:229], v[208:209], -v[8:9]
	v_mul_f64 v[8:9], v[228:229], v[210:211]
	v_fma_f64 v[34:35], v[230:231], v[208:209], v[8:9]
	v_mul_f64 v[8:9], v[234:235], v[206:207]
	v_fma_f64 v[198:199], v[232:233], v[204:205], -v[8:9]
	v_mul_f64 v[8:9], v[232:233], v[206:207]
	v_fma_f64 v[38:39], v[234:235], v[204:205], v[8:9]
	v_add_f64 v[8:9], v[18:19], v[12:13]
	v_fma_f64 v[18:19], v[64:65], s[18:19], v[10:11]
	v_fma_f64 v[10:11], v[64:65], s[6:7], v[10:11]
	v_add_f64 v[12:13], v[12:13], -v[28:29]
	v_add_f64 v[8:9], v[8:9], v[44:45]
	v_fma_f64 v[18:19], v[62:63], s[8:9], v[18:19]
	v_fma_f64 v[10:11], v[62:63], s[16:17], v[10:11]
	v_add_f64 v[8:9], v[8:9], v[24:25]
	v_fma_f64 v[148:149], v[66:67], s[14:15], v[18:19]
	v_add_f64 v[18:19], v[22:23], v[26:27]
	v_add_f64 v[24:25], v[44:45], -v[24:25]
	v_add_f64 v[44:45], v[30:31], -v[26:27]
	v_fma_f64 v[144:145], v[66:67], s[14:15], v[10:11]
	v_add_f64 v[10:11], v[20:21], v[42:43]
	v_add_f64 v[8:9], v[8:9], v[28:29]
	v_add_f64 v[28:29], v[42:43], -v[22:23]
	v_fma_f64 v[62:63], v[18:19], -0.5, v[20:21]
	v_add_f64 v[10:11], v[10:11], v[22:23]
	v_add_f64 v[22:23], v[22:23], -v[42:43]
	v_add_f64 v[28:29], v[28:29], v[44:45]
	v_fma_f64 v[18:19], v[12:13], s[18:19], v[62:63]
	v_fma_f64 v[44:45], v[12:13], s[6:7], v[62:63]
	v_add_f64 v[10:11], v[10:11], v[26:27]
	v_add_f64 v[26:27], v[26:27], -v[30:31]
	v_fma_f64 v[18:19], v[24:25], s[16:17], v[18:19]
	v_fma_f64 v[44:45], v[24:25], s[8:9], v[44:45]
	v_add_f64 v[10:11], v[10:11], v[30:31]
	v_add_f64 v[22:23], v[22:23], v[26:27]
	v_add_f64 v[26:27], v[202:203], -v[200:201]
	v_fma_f64 v[18:19], v[28:29], s[14:15], v[18:19]
	v_fma_f64 v[220:221], v[28:29], s[14:15], v[44:45]
	v_add_f64 v[28:29], v[42:43], v[30:31]
	v_add_f64 v[30:31], v[60:61], -v[57:58]
	v_add_f64 v[42:43], v[57:58], -v[60:61]
	;; [unrolled: 1-line block ×3, first 2 shown]
	v_fma_f64 v[20:21], v[28:29], -0.5, v[20:21]
	v_fma_f64 v[28:29], v[24:25], s[6:7], v[20:21]
	v_fma_f64 v[20:21], v[24:25], s[18:19], v[20:21]
	;; [unrolled: 1-line block ×6, first 2 shown]
	v_add_f64 v[12:13], v[4:5], v[46:47]
	v_add_f64 v[22:23], v[174:175], -v[216:217]
	v_add_f64 v[28:29], v[46:47], -v[55:56]
	v_add_f64 v[12:13], v[12:13], v[55:56]
	v_add_f64 v[30:31], v[28:29], v[30:31]
	;; [unrolled: 1-line block ×5, first 2 shown]
	v_add_f64 v[57:58], v[198:199], -v[196:197]
	v_fma_f64 v[12:13], v[12:13], -0.5, v[4:5]
	v_fma_f64 v[24:25], v[22:23], s[6:7], v[12:13]
	v_fma_f64 v[12:13], v[22:23], s[18:19], v[12:13]
	;; [unrolled: 1-line block ×6, first 2 shown]
	v_add_f64 v[12:13], v[46:47], v[60:61]
	v_add_f64 v[30:31], v[55:56], -v[46:47]
	v_add_f64 v[55:56], v[200:201], -v[216:217]
	v_fma_f64 v[4:5], v[12:13], -0.5, v[4:5]
	v_add_f64 v[30:31], v[30:31], v[42:43]
	v_add_f64 v[42:43], v[46:47], -v[60:61]
	v_add_f64 v[46:47], v[216:217], -v[200:201]
	v_fma_f64 v[12:13], v[26:27], s[18:19], v[4:5]
	v_fma_f64 v[4:5], v[26:27], s[6:7], v[4:5]
	;; [unrolled: 1-line block ×5, first 2 shown]
	v_add_f64 v[12:13], v[6:7], v[174:175]
	v_fma_f64 v[4:5], v[30:31], s[14:15], v[4:5]
	v_add_f64 v[30:31], v[174:175], -v[202:203]
	v_add_f64 v[12:13], v[12:13], v[202:203]
	v_add_f64 v[46:47], v[30:31], v[46:47]
	;; [unrolled: 1-line block ×5, first 2 shown]
	v_fma_f64 v[12:13], v[12:13], -0.5, v[6:7]
	v_fma_f64 v[26:27], v[42:43], s[18:19], v[12:13]
	v_fma_f64 v[12:13], v[42:43], s[6:7], v[12:13]
	;; [unrolled: 1-line block ×6, first 2 shown]
	v_add_f64 v[12:13], v[174:175], v[216:217]
	v_add_f64 v[46:47], v[202:203], -v[174:175]
	v_fma_f64 v[6:7], v[12:13], -0.5, v[6:7]
	v_add_f64 v[46:47], v[46:47], v[55:56]
	v_add_f64 v[55:56], v[184:185], -v[186:187]
	v_fma_f64 v[12:13], v[44:45], s[6:7], v[6:7]
	v_fma_f64 v[6:7], v[44:45], s[18:19], v[6:7]
	v_add_f64 v[55:56], v[55:56], v[57:58]
	v_add_f64 v[57:58], v[38:39], -v[34:35]
	v_fma_f64 v[12:13], v[42:43], s[16:17], v[12:13]
	v_fma_f64 v[6:7], v[42:43], s[8:9], v[6:7]
	v_add_f64 v[42:43], v[32:33], -v[38:39]
	v_fma_f64 v[174:175], v[46:47], s[14:15], v[12:13]
	v_add_f64 v[12:13], v[0:1], v[184:185]
	v_fma_f64 v[6:7], v[46:47], s[14:15], v[6:7]
	v_add_f64 v[46:47], v[36:37], -v[34:35]
	v_add_f64 v[12:13], v[12:13], v[186:187]
	v_add_f64 v[12:13], v[12:13], v[196:197]
	;; [unrolled: 1-line block ×4, first 2 shown]
	v_fma_f64 v[12:13], v[12:13], -0.5, v[0:1]
	v_fma_f64 v[44:45], v[42:43], s[6:7], v[12:13]
	v_fma_f64 v[12:13], v[42:43], s[18:19], v[12:13]
	;; [unrolled: 1-line block ×6, first 2 shown]
	v_add_f64 v[12:13], v[184:185], v[198:199]
	v_add_f64 v[44:45], v[186:187], -v[184:185]
	v_add_f64 v[55:56], v[196:197], -v[198:199]
	v_fma_f64 v[12:13], v[12:13], -0.5, v[0:1]
	v_add_f64 v[44:45], v[44:45], v[55:56]
	v_add_f64 v[55:56], v[32:33], -v[36:37]
	v_fma_f64 v[0:1], v[46:47], s[18:19], v[12:13]
	v_fma_f64 v[12:13], v[46:47], s[6:7], v[12:13]
	v_add_f64 v[46:47], v[186:187], -v[196:197]
	v_add_f64 v[55:56], v[55:56], v[57:58]
	v_fma_f64 v[0:1], v[42:43], s[8:9], v[0:1]
	v_fma_f64 v[12:13], v[42:43], s[16:17], v[12:13]
	v_add_f64 v[42:43], v[184:185], -v[198:199]
	v_fma_f64 v[0:1], v[44:45], s[14:15], v[0:1]
	v_fma_f64 v[236:237], v[44:45], s[14:15], v[12:13]
	v_add_f64 v[12:13], v[2:3], v[32:33]
	v_add_f64 v[12:13], v[12:13], v[36:37]
	;; [unrolled: 1-line block ×5, first 2 shown]
	v_add_f64 v[34:35], v[34:35], -v[38:39]
	v_fma_f64 v[12:13], v[12:13], -0.5, v[2:3]
	v_fma_f64 v[44:45], v[42:43], s[18:19], v[12:13]
	v_fma_f64 v[12:13], v[42:43], s[6:7], v[12:13]
	;; [unrolled: 1-line block ×6, first 2 shown]
	v_add_f64 v[12:13], v[32:33], v[38:39]
	v_add_f64 v[32:33], v[36:37], -v[32:33]
	v_fma_f64 v[12:13], v[12:13], -0.5, v[2:3]
	v_add_f64 v[32:33], v[32:33], v[34:35]
	v_fma_f64 v[2:3], v[46:47], s[6:7], v[12:13]
	v_fma_f64 v[12:13], v[46:47], s[18:19], v[12:13]
	;; [unrolled: 1-line block ×6, first 2 shown]
	v_mov_b32_e32 v12, 0xe1
	v_mul_u32_u24_sdwa v12, v40, v12 dst_sel:DWORD dst_unused:UNUSED_PAD src0_sel:WORD_0 src1_sel:DWORD
	v_add_lshl_u32 v12, v12, v41, 4
	buffer_store_dword v12, off, s[24:27], 0 offset:540 ; 4-byte Folded Spill
	ds_write_b128 v12, v[8:11]
	ds_write_b128 v12, v[16:19] offset:720
	ds_write_b128 v12, v[148:151] offset:1440
	;; [unrolled: 1-line block ×4, first 2 shown]
	v_mad_u16 v8, 0xe1, v48, v49
	v_lshlrev_b32_sdwa v8, v255, v8 dst_sel:DWORD dst_unused:UNUSED_PAD src0_sel:DWORD src1_sel:WORD_0
	buffer_store_dword v8, off, s[24:27], 0 offset:528 ; 4-byte Folded Spill
	ds_write_b128 v8, v[20:23]
	ds_write_b128 v8, v[28:31] offset:720
	ds_write_b128 v8, v[172:175] offset:1440
	;; [unrolled: 1-line block ×4, first 2 shown]
	v_mad_u16 v4, 0xe1, v51, v222
	v_lshlrev_b32_sdwa v4, v255, v4 dst_sel:DWORD dst_unused:UNUSED_PAD src0_sel:DWORD src1_sel:WORD_0
	buffer_store_dword v4, off, s[24:27], 0 offset:492 ; 4-byte Folded Spill
	ds_write_b128 v4, v[200:203]
	ds_write_b128 v4, v[228:231] offset:720
	ds_write_b128 v4, v[0:3] offset:1440
	;; [unrolled: 1-line block ×4, first 2 shown]
	v_lshlrev_b32_e32 v0, 5, v53
	s_waitcnt lgkmcnt(0)
	s_waitcnt_vscnt null, 0x0
	s_barrier
	buffer_gl0_inv
	ds_read_b128 v[16:19], v52
	ds_read_b128 v[28:31], v52 offset:10800
	ds_read_b128 v[32:35], v52 offset:21600
	ds_read_b128 v[22:25], v52 offset:2160
	ds_read_b128 v[36:39], v52 offset:12960
	ds_read_b128 v[196:199], v52 offset:23760
	ds_read_b128 v[8:11], v52 offset:4320
	ds_read_b128 v[216:219], v52 offset:15120
	ds_read_b128 v[220:223], v52 offset:25920
	ds_read_b128 v[4:7], v52 offset:6480
	ds_read_b128 v[228:231], v52 offset:17280
	ds_read_b128 v[232:235], v52 offset:28080
	ds_read_b128 v[40:43], v52 offset:8640
	ds_read_b128 v[236:239], v52 offset:19440
	ds_read_b128 v[240:243], v52 offset:30240
	v_add_co_u32 v26, s20, s10, v0
	v_add_co_ci_u32_e64 v27, null, s11, 0, s20
	buffer_store_dword v53, off, s[24:27], 0 offset:248 ; 4-byte Folded Spill
	v_add_co_u32 v0, vcc_lo, 0xde0, v26
	v_add_co_ci_u32_e32 v1, vcc_lo, 0, v27, vcc_lo
	v_add_co_u32 v2, vcc_lo, 0x800, v26
	v_add_co_ci_u32_e32 v3, vcc_lo, 0, v27, vcc_lo
	s_clause 0x1
	global_load_dwordx4 v[148:151], v[2:3], off offset:1504
	global_load_dwordx4 v[144:147], v[0:1], off offset:16
	v_add_co_u32 v15, s20, 0xffffffa6, v53
	v_cmp_gt_u16_e32 vcc_lo, 0x5a, v254
	s_waitcnt vmcnt(1) lgkmcnt(13)
	v_mul_f64 v[2:3], v[28:29], v[150:151]
	s_waitcnt vmcnt(0) lgkmcnt(12)
	v_mul_f64 v[20:21], v[32:33], v[146:147]
	v_mul_f64 v[0:1], v[30:31], v[150:151]
	v_mul_f64 v[12:13], v[34:35], v[146:147]
	v_fma_f64 v[2:3], v[30:31], v[148:149], v[2:3]
	v_fma_f64 v[30:31], v[34:35], v[144:145], v[20:21]
	v_add_co_ci_u32_e64 v20, null, 0, -1, s20
	v_fma_f64 v[0:1], v[28:29], v[148:149], -v[0:1]
	v_fma_f64 v[12:13], v[32:33], v[144:145], -v[12:13]
	v_mov_b32_e32 v34, 0x91a3
	v_cndmask_b32_e32 v21, v20, v14, vcc_lo
	v_cndmask_b32_e32 v20, v15, v244, vcc_lo
	v_lshlrev_b64 v[14:15], 5, v[20:21]
	v_add_co_u32 v21, vcc_lo, s10, v14
	v_add_co_ci_u32_e32 v29, vcc_lo, s11, v15, vcc_lo
	v_add_co_u32 v14, vcc_lo, 0xde0, v21
	v_add_co_ci_u32_e32 v15, vcc_lo, 0, v29, vcc_lo
	;; [unrolled: 2-line block ×3, first 2 shown]
	s_clause 0x1
	global_load_dwordx4 v[184:187], v[28:29], off offset:1504
	global_load_dwordx4 v[172:175], v[14:15], off offset:16
	v_mul_u32_u24_sdwa v21, v106, v34 dst_sel:DWORD dst_unused:UNUSED_PAD src0_sel:WORD_0 src1_sel:DWORD
	v_lshrrev_b32_e32 v46, 23, v21
	v_mul_lo_u16 v21, 0xe1, v46
	v_sub_nc_u16 v21, v106, v21
	s_waitcnt vmcnt(1) lgkmcnt(10)
	v_mul_f64 v[28:29], v[36:37], v[186:187]
	v_mul_f64 v[14:15], v[38:39], v[186:187]
	v_fma_f64 v[44:45], v[38:39], v[184:185], v[28:29]
	s_waitcnt vmcnt(0) lgkmcnt(9)
	v_mul_f64 v[28:29], v[198:199], v[174:175]
	v_fma_f64 v[14:15], v[36:37], v[184:185], -v[14:15]
	v_fma_f64 v[47:48], v[196:197], v[172:173], -v[28:29]
	v_mul_f64 v[28:29], v[196:197], v[174:175]
	v_fma_f64 v[49:50], v[198:199], v[172:173], v[28:29]
	v_add_co_u32 v28, vcc_lo, 0x1380, v26
	v_add_co_ci_u32_e32 v29, vcc_lo, 0, v27, vcc_lo
	v_add_co_u32 v32, vcc_lo, 0x1000, v26
	v_add_co_ci_u32_e32 v33, vcc_lo, 0, v27, vcc_lo
	s_clause 0x1
	global_load_dwordx4 v[200:203], v[32:33], off offset:896
	global_load_dwordx4 v[196:199], v[28:29], off offset:16
	s_waitcnt vmcnt(1) lgkmcnt(7)
	v_mul_f64 v[28:29], v[218:219], v[202:203]
	v_fma_f64 v[55:56], v[216:217], v[200:201], -v[28:29]
	v_mul_f64 v[28:29], v[216:217], v[202:203]
	v_fma_f64 v[57:58], v[218:219], v[200:201], v[28:29]
	s_waitcnt vmcnt(0) lgkmcnt(6)
	v_mul_f64 v[28:29], v[222:223], v[198:199]
	v_fma_f64 v[64:65], v[220:221], v[196:197], -v[28:29]
	v_mul_f64 v[28:29], v[220:221], v[198:199]
	v_fma_f64 v[66:67], v[222:223], v[196:197], v[28:29]
	v_lshlrev_b16 v28, 5, v21
	v_and_b32_e32 v28, 0xffff, v28
	v_add_co_u32 v32, s20, s10, v28
	v_add_co_ci_u32_e64 v33, null, s11, 0, s20
	v_add_co_u32 v28, vcc_lo, 0xde0, v32
	v_add_co_ci_u32_e32 v29, vcc_lo, 0, v33, vcc_lo
	v_add_co_u32 v32, vcc_lo, 0x800, v32
	v_add_co_ci_u32_e32 v33, vcc_lo, 0, v33, vcc_lo
	s_clause 0x1
	global_load_dwordx4 v[220:223], v[32:33], off offset:1504
	global_load_dwordx4 v[216:219], v[28:29], off offset:16
	s_waitcnt vmcnt(1) lgkmcnt(4)
	v_mul_f64 v[28:29], v[230:231], v[222:223]
	v_fma_f64 v[81:82], v[228:229], v[220:221], -v[28:29]
	v_mul_f64 v[28:29], v[228:229], v[222:223]
	v_fma_f64 v[116:117], v[230:231], v[220:221], v[28:29]
	s_waitcnt vmcnt(0) lgkmcnt(3)
	v_mul_f64 v[28:29], v[234:235], v[218:219]
	v_fma_f64 v[118:119], v[232:233], v[216:217], -v[28:29]
	v_mul_f64 v[28:29], v[232:233], v[218:219]
	v_fma_f64 v[120:121], v[234:235], v[216:217], v[28:29]
	v_mul_u32_u24_sdwa v28, v59, v34 dst_sel:DWORD dst_unused:UNUSED_PAD src0_sel:WORD_0 src1_sel:DWORD
	v_lshrrev_b32_e32 v28, 23, v28
	v_mul_lo_u16 v28, 0xe1, v28
	v_sub_nc_u16 v53, v59, v28
	v_lshlrev_b16 v28, 5, v53
	v_and_b32_e32 v28, 0xffff, v28
	v_add_co_u32 v32, s20, s10, v28
	v_add_co_ci_u32_e64 v33, null, s11, 0, s20
	v_add_co_u32 v28, vcc_lo, 0xde0, v32
	v_add_co_ci_u32_e32 v29, vcc_lo, 0, v33, vcc_lo
	v_add_co_u32 v32, vcc_lo, 0x800, v32
	v_add_co_ci_u32_e32 v33, vcc_lo, 0, v33, vcc_lo
	s_clause 0x1
	global_load_dwordx4 v[232:235], v[32:33], off offset:1504
	global_load_dwordx4 v[228:231], v[28:29], off offset:16
	v_add_f64 v[32:33], v[2:3], -v[30:31]
	v_cmp_lt_u16_e32 vcc_lo, 0x59, v254
	s_waitcnt vmcnt(0) lgkmcnt(0)
	s_waitcnt_vscnt null, 0x0
	s_barrier
	buffer_gl0_inv
	v_mul_f64 v[28:29], v[238:239], v[234:235]
	v_fma_f64 v[122:123], v[236:237], v[232:233], -v[28:29]
	v_mul_f64 v[28:29], v[236:237], v[234:235]
	v_fma_f64 v[124:125], v[238:239], v[232:233], v[28:29]
	v_mul_f64 v[28:29], v[242:243], v[230:231]
	v_fma_f64 v[126:127], v[240:241], v[228:229], -v[28:29]
	v_mul_f64 v[28:29], v[240:241], v[230:231]
	v_fma_f64 v[128:129], v[242:243], v[228:229], v[28:29]
	v_add_f64 v[28:29], v[16:17], v[0:1]
	v_add_f64 v[60:61], v[28:29], v[12:13]
	;; [unrolled: 1-line block ×3, first 2 shown]
	v_add_f64 v[0:1], v[0:1], -v[12:13]
	v_cndmask_b32_e64 v12, 0, 0x2a3, vcc_lo
	v_add_lshl_u32 v12, v20, v12, 4
	v_fma_f64 v[16:17], v[28:29], -0.5, v[16:17]
	v_fma_f64 v[28:29], v[32:33], s[2:3], v[16:17]
	v_fma_f64 v[32:33], v[32:33], s[4:5], v[16:17]
	v_add_f64 v[16:17], v[18:19], v[2:3]
	v_add_f64 v[2:3], v[2:3], v[30:31]
	;; [unrolled: 1-line block ×3, first 2 shown]
	v_fma_f64 v[2:3], v[2:3], -0.5, v[18:19]
	v_add_f64 v[17:18], v[122:123], -v[126:127]
	v_fma_f64 v[30:31], v[0:1], s[4:5], v[2:3]
	v_fma_f64 v[34:35], v[0:1], s[2:3], v[2:3]
	v_add_f64 v[0:1], v[22:23], v[14:15]
	v_add_f64 v[2:3], v[44:45], -v[49:50]
	ds_write_b128 v52, v[60:63]
	ds_write_b128 v52, v[28:31] offset:3600
	ds_write_b128 v52, v[32:35] offset:7200
	buffer_store_dword v12, off, s[24:27], 0 offset:552 ; 4-byte Folded Spill
	v_add_f64 v[36:37], v[0:1], v[47:48]
	v_add_f64 v[0:1], v[14:15], v[47:48]
	v_fma_f64 v[0:1], v[0:1], -0.5, v[22:23]
	v_fma_f64 v[22:23], v[2:3], s[2:3], v[0:1]
	v_fma_f64 v[236:237], v[2:3], s[4:5], v[0:1]
	v_add_f64 v[0:1], v[24:25], v[44:45]
	v_add_f64 v[2:3], v[14:15], -v[47:48]
	v_add_f64 v[38:39], v[0:1], v[49:50]
	v_add_f64 v[0:1], v[44:45], v[49:50]
	v_fma_f64 v[0:1], v[0:1], -0.5, v[24:25]
	v_fma_f64 v[24:25], v[2:3], s[4:5], v[0:1]
	v_fma_f64 v[238:239], v[2:3], s[2:3], v[0:1]
	v_add_f64 v[0:1], v[8:9], v[55:56]
	v_add_f64 v[2:3], v[57:58], -v[66:67]
	;; [unrolled: 7-line block ×4, first 2 shown]
	ds_write_b128 v12, v[36:39]
	ds_write_b128 v12, v[22:25] offset:3600
	ds_write_b128 v12, v[236:239] offset:7200
	;; [unrolled: 1-line block ×5, first 2 shown]
	v_mad_u16 v12, 0x2a3, v46, v21
	v_add_f64 v[249:250], v[0:1], v[118:119]
	v_add_f64 v[0:1], v[81:82], v[118:119]
	v_lshlrev_b32_sdwa v12, v255, v12 dst_sel:DWORD dst_unused:UNUSED_PAD src0_sel:DWORD src1_sel:WORD_0
	buffer_store_dword v12, off, s[24:27], 0 offset:548 ; 4-byte Folded Spill
	v_fma_f64 v[0:1], v[0:1], -0.5, v[4:5]
	v_fma_f64 v[4:5], v[2:3], s[2:3], v[0:1]
	v_fma_f64 v[8:9], v[2:3], s[4:5], v[0:1]
	v_add_f64 v[0:1], v[6:7], v[116:117]
	v_add_f64 v[2:3], v[81:82], -v[118:119]
	v_add_co_u32 v81, vcc_lo, 0x2a00, v26
	v_add_co_ci_u32_e32 v82, vcc_lo, 0, v27, vcc_lo
	v_add_co_u32 v25, vcc_lo, 0x2800, v26
	v_add_co_ci_u32_e32 v26, vcc_lo, 0, v27, vcc_lo
	v_add_f64 v[251:252], v[0:1], v[120:121]
	v_add_f64 v[0:1], v[116:117], v[120:121]
	v_fma_f64 v[0:1], v[0:1], -0.5, v[6:7]
	v_fma_f64 v[6:7], v[2:3], s[4:5], v[0:1]
	v_fma_f64 v[10:11], v[2:3], s[2:3], v[0:1]
	v_add_f64 v[0:1], v[40:41], v[122:123]
	v_add_f64 v[2:3], v[124:125], -v[128:129]
	ds_write_b128 v12, v[249:252]
	ds_write_b128 v12, v[4:7] offset:3600
	ds_write_b128 v12, v[8:11] offset:7200
	v_lshlrev_b32_sdwa v4, v255, v53 dst_sel:DWORD dst_unused:UNUSED_PAD src0_sel:DWORD src1_sel:WORD_0
	v_add_f64 v[48:49], v[0:1], v[126:127]
	v_add_f64 v[0:1], v[122:123], v[126:127]
	buffer_store_dword v4, off, s[24:27], 0 offset:544 ; 4-byte Folded Spill
	v_fma_f64 v[0:1], v[0:1], -0.5, v[40:41]
	v_fma_f64 v[55:56], v[2:3], s[2:3], v[0:1]
	v_fma_f64 v[0:1], v[2:3], s[4:5], v[0:1]
	v_add_f64 v[2:3], v[42:43], v[124:125]
	v_add_f64 v[50:51], v[2:3], v[128:129]
	;; [unrolled: 1-line block ×3, first 2 shown]
	v_fma_f64 v[2:3], v[2:3], -0.5, v[42:43]
	v_fma_f64 v[57:58], v[17:18], s[4:5], v[2:3]
	v_fma_f64 v[2:3], v[17:18], s[2:3], v[2:3]
	ds_write_b128 v4, v[48:51] offset:21600
	ds_write_b128 v4, v[55:58] offset:25200
	;; [unrolled: 1-line block ×3, first 2 shown]
	s_waitcnt lgkmcnt(0)
	s_waitcnt_vscnt null, 0x0
	s_barrier
	buffer_gl0_inv
	ds_read_b128 v[12:15], v52
	ds_read_b128 v[21:24], v52 offset:10800
	ds_read_b128 v[28:31], v52 offset:21600
	;; [unrolled: 1-line block ×14, first 2 shown]
	s_clause 0x1
	global_load_dwordx4 v[240:243], v[25:26], off offset:512
	global_load_dwordx4 v[236:239], v[81:82], off offset:16
	s_waitcnt vmcnt(1) lgkmcnt(13)
	v_mul_f64 v[25:26], v[23:24], v[242:243]
	v_fma_f64 v[26:27], v[21:22], v[240:241], -v[25:26]
	v_mul_f64 v[20:21], v[21:22], v[242:243]
	v_fma_f64 v[20:21], v[23:24], v[240:241], v[20:21]
	s_waitcnt vmcnt(0) lgkmcnt(12)
	v_mul_f64 v[24:25], v[28:29], v[238:239]
	v_mul_f64 v[22:23], v[30:31], v[238:239]
	v_fma_f64 v[30:31], v[30:31], v[236:237], v[24:25]
	v_lshlrev_b32_e32 v24, 5, v244
	v_fma_f64 v[22:23], v[28:29], v[236:237], -v[22:23]
	v_add_co_u32 v28, s20, s10, v24
	v_add_co_ci_u32_e64 v29, null, s11, 0, s20
	v_add_co_u32 v24, vcc_lo, 0x2a00, v28
	v_add_co_ci_u32_e32 v25, vcc_lo, 0, v29, vcc_lo
	v_add_co_u32 v28, vcc_lo, 0x2800, v28
	v_add_co_ci_u32_e32 v29, vcc_lo, 0, v29, vcc_lo
	s_clause 0x1
	global_load_dwordx4 v[248:251], v[28:29], off offset:512
	global_load_dwordx4 v[244:247], v[24:25], off offset:16
	s_waitcnt vmcnt(1) lgkmcnt(10)
	v_mul_f64 v[24:25], v[34:35], v[250:251]
	s_waitcnt vmcnt(0) lgkmcnt(9)
	v_mul_f64 v[28:29], v[38:39], v[246:247]
	v_fma_f64 v[81:82], v[32:33], v[248:249], -v[24:25]
	v_mul_f64 v[24:25], v[32:33], v[250:251]
	v_mul_f64 v[32:33], v[36:37], v[246:247]
	v_fma_f64 v[28:29], v[36:37], v[244:245], -v[28:29]
	v_fma_f64 v[24:25], v[34:35], v[248:249], v[24:25]
	v_fma_f64 v[36:37], v[38:39], v[244:245], v[32:33]
	v_lshlrev_b32_e32 v32, 5, v253
	v_add_co_u32 v34, s20, s10, v32
	v_add_co_ci_u32_e64 v35, null, s11, 0, s20
	v_add_co_u32 v32, vcc_lo, 0x2a00, v34
	v_add_co_ci_u32_e32 v33, vcc_lo, 0, v35, vcc_lo
	v_add_co_u32 v34, vcc_lo, 0x2800, v34
	v_add_co_ci_u32_e32 v35, vcc_lo, 0, v35, vcc_lo
	s_clause 0x1
	global_load_dwordx4 v[132:135], v[34:35], off offset:512
	global_load_dwordx4 v[252:255], v[32:33], off offset:16
	s_waitcnt vmcnt(1) lgkmcnt(7)
	v_mul_f64 v[32:33], v[50:51], v[134:135]
	s_waitcnt vmcnt(0) lgkmcnt(6)
	v_mul_f64 v[38:39], v[57:58], v[254:255]
	v_mul_f64 v[34:35], v[48:49], v[134:135]
	v_fma_f64 v[68:69], v[48:49], v[132:133], -v[32:33]
	v_fma_f64 v[32:33], v[55:56], v[252:253], -v[38:39]
	v_mul_f64 v[38:39], v[55:56], v[254:255]
	v_fma_f64 v[34:35], v[50:51], v[132:133], v[34:35]
	v_fma_f64 v[57:58], v[57:58], v[252:253], v[38:39]
	v_lshlrev_b32_e32 v38, 5, v106
	v_add_co_u32 v48, s20, s10, v38
	v_add_co_ci_u32_e64 v49, null, s11, 0, s20
	v_add_co_u32 v38, vcc_lo, 0x2a00, v48
	v_add_co_ci_u32_e32 v39, vcc_lo, 0, v49, vcc_lo
	v_add_co_u32 v48, vcc_lo, 0x2800, v48
	v_add_co_ci_u32_e32 v49, vcc_lo, 0, v49, vcc_lo
	s_clause 0x1
	global_load_dwordx4 v[124:127], v[48:49], off offset:512
	global_load_dwordx4 v[128:131], v[38:39], off offset:16
	s_waitcnt vmcnt(1) lgkmcnt(4)
	v_mul_f64 v[38:39], v[62:63], v[126:127]
	v_fma_f64 v[106:107], v[60:61], v[124:125], -v[38:39]
	v_mul_f64 v[38:39], v[60:61], v[126:127]
	v_fma_f64 v[53:54], v[62:63], v[124:125], v[38:39]
	s_waitcnt vmcnt(0) lgkmcnt(3)
	v_mul_f64 v[38:39], v[2:3], v[130:131]
	v_fma_f64 v[70:71], v[0:1], v[128:129], -v[38:39]
	v_mul_f64 v[0:1], v[0:1], v[130:131]
	v_fma_f64 v[0:1], v[2:3], v[128:129], v[0:1]
	v_lshlrev_b32_e32 v2, 5, v59
	v_add_co_u32 v38, s10, s10, v2
	v_add_co_ci_u32_e64 v39, null, s11, 0, s10
	v_add_co_u32 v2, vcc_lo, 0x2a00, v38
	v_add_co_ci_u32_e32 v3, vcc_lo, 0, v39, vcc_lo
	v_add_co_u32 v38, vcc_lo, 0x2800, v38
	v_add_co_ci_u32_e32 v39, vcc_lo, 0, v39, vcc_lo
	s_clause 0x1
	global_load_dwordx4 v[116:119], v[38:39], off offset:512
	global_load_dwordx4 v[120:123], v[2:3], off offset:16
	s_waitcnt vmcnt(1) lgkmcnt(1)
	v_mul_f64 v[2:3], v[6:7], v[118:119]
	v_fma_f64 v[74:75], v[4:5], v[116:117], -v[2:3]
	v_mul_f64 v[2:3], v[4:5], v[118:119]
	v_add_f64 v[4:5], v[20:21], -v[30:31]
	v_fma_f64 v[72:73], v[6:7], v[116:117], v[2:3]
	s_waitcnt vmcnt(0) lgkmcnt(0)
	v_mul_f64 v[2:3], v[10:11], v[122:123]
	v_fma_f64 v[101:102], v[8:9], v[120:121], -v[2:3]
	v_mul_f64 v[2:3], v[8:9], v[122:123]
	v_fma_f64 v[6:7], v[10:11], v[120:121], v[2:3]
	v_add_f64 v[2:3], v[12:13], v[26:27]
	v_add_f64 v[87:88], v[2:3], v[22:23]
	;; [unrolled: 1-line block ×3, first 2 shown]
	v_fma_f64 v[2:3], v[2:3], -0.5, v[12:13]
	v_fma_f64 v[76:77], v[4:5], s[2:3], v[2:3]
	v_fma_f64 v[83:84], v[4:5], s[4:5], v[2:3]
	v_add_f64 v[2:3], v[14:15], v[20:21]
	v_add_f64 v[4:5], v[26:27], -v[22:23]
	v_add_f64 v[89:90], v[2:3], v[30:31]
	v_add_f64 v[2:3], v[20:21], v[30:31]
	v_fma_f64 v[2:3], v[2:3], -0.5, v[14:15]
	v_fma_f64 v[78:79], v[4:5], s[4:5], v[2:3]
	v_fma_f64 v[85:86], v[4:5], s[2:3], v[2:3]
	v_add_f64 v[2:3], v[16:17], v[81:82]
	v_add_f64 v[4:5], v[24:25], -v[36:37]
	v_add_f64 v[20:21], v[2:3], v[28:29]
	v_add_f64 v[2:3], v[81:82], v[28:29]
	;; [unrolled: 7-line block ×3, first 2 shown]
	v_add_f64 v[24:25], v[74:75], -v[101:102]
	v_fma_f64 v[2:3], v[2:3], -0.5, v[18:19]
	v_fma_f64 v[18:19], v[4:5], s[4:5], v[2:3]
	v_fma_f64 v[50:51], v[4:5], s[2:3], v[2:3]
	v_add_f64 v[2:3], v[40:41], v[68:69]
	v_add_f64 v[4:5], v[34:35], -v[57:58]
	v_add_f64 v[37:38], v[2:3], v[32:33]
	v_add_f64 v[2:3], v[68:69], v[32:33]
	v_fma_f64 v[2:3], v[2:3], -0.5, v[40:41]
	v_fma_f64 v[55:56], v[4:5], s[2:3], v[2:3]
	v_fma_f64 v[59:60], v[4:5], s[4:5], v[2:3]
	v_add_f64 v[2:3], v[42:43], v[34:35]
	v_add_f64 v[4:5], v[68:69], -v[32:33]
	v_add_f64 v[39:40], v[2:3], v[57:58]
	v_add_f64 v[2:3], v[34:35], v[57:58]
	;; [unrolled: 7-line block ×4, first 2 shown]
	v_add_f64 v[2:3], v[106:107], -v[70:71]
	v_fma_f64 v[0:1], v[0:1], -0.5, v[46:47]
	v_fma_f64 v[10:11], v[2:3], s[4:5], v[0:1]
	v_fma_f64 v[14:15], v[2:3], s[2:3], v[0:1]
	v_add_f64 v[2:3], v[74:75], v[101:102]
	v_add_f64 v[0:1], v[64:65], v[74:75]
	v_fma_f64 v[2:3], v[2:3], -0.5, v[64:65]
	v_add_f64 v[0:1], v[0:1], v[101:102]
	v_fma_f64 v[63:64], v[4:5], s[2:3], v[2:3]
	v_fma_f64 v[4:5], v[4:5], s[4:5], v[2:3]
	v_add_f64 v[2:3], v[66:67], v[72:73]
	v_add_f64 v[2:3], v[2:3], v[6:7]
	;; [unrolled: 1-line block ×3, first 2 shown]
	v_fma_f64 v[6:7], v[6:7], -0.5, v[66:67]
	v_fma_f64 v[65:66], v[24:25], s[4:5], v[6:7]
	v_fma_f64 v[6:7], v[24:25], s[2:3], v[6:7]
	ds_write_b128 v52, v[87:90]
	ds_write_b128 v52, v[76:79] offset:10800
	ds_write_b128 v52, v[83:86] offset:21600
	;; [unrolled: 1-line block ×14, first 2 shown]
	v_add_co_u32 v4, vcc_lo, 0x7800, v104
	v_add_co_ci_u32_e32 v5, vcc_lo, 0, v105, vcc_lo
	s_waitcnt lgkmcnt(0)
	s_barrier
	buffer_gl0_inv
	global_load_dwordx4 v[4:7], v[4:5], off offset:1680
	ds_read_b128 v[0:3], v52
	s_waitcnt vmcnt(0) lgkmcnt(0)
	v_mul_f64 v[8:9], v[2:3], v[6:7]
	v_fma_f64 v[8:9], v[0:1], v[4:5], -v[8:9]
	v_mul_f64 v[0:1], v[0:1], v[6:7]
	v_fma_f64 v[10:11], v[2:3], v[4:5], v[0:1]
	v_add_co_u32 v4, vcc_lo, 0xa800, v104
	v_add_co_ci_u32_e32 v5, vcc_lo, 0, v105, vcc_lo
	ds_read_b128 v[0:3], v52 offset:10800
	global_load_dwordx4 v[4:7], v[4:5], off offset:192
	ds_write_b128 v52, v[8:11]
	s_waitcnt vmcnt(0) lgkmcnt(1)
	v_mul_f64 v[8:9], v[2:3], v[6:7]
	v_fma_f64 v[8:9], v[0:1], v[4:5], -v[8:9]
	v_mul_f64 v[0:1], v[0:1], v[6:7]
	v_fma_f64 v[10:11], v[2:3], v[4:5], v[0:1]
	v_add_co_u32 v4, vcc_lo, 0xd000, v104
	v_add_co_ci_u32_e32 v5, vcc_lo, 0, v105, vcc_lo
	ds_read_b128 v[0:3], v52 offset:21600
	global_load_dwordx4 v[4:7], v[4:5], off offset:752
	ds_write_b128 v52, v[8:11] offset:10800
	s_waitcnt vmcnt(0) lgkmcnt(1)
	v_mul_f64 v[8:9], v[2:3], v[6:7]
	v_fma_f64 v[8:9], v[0:1], v[4:5], -v[8:9]
	v_mul_f64 v[0:1], v[0:1], v[6:7]
	v_fma_f64 v[10:11], v[2:3], v[4:5], v[0:1]
	v_add_co_u32 v4, vcc_lo, 0x8000, v104
	v_add_co_ci_u32_e32 v5, vcc_lo, 0, v105, vcc_lo
	ds_read_b128 v[0:3], v52 offset:2160
	global_load_dwordx4 v[4:7], v[4:5], off offset:1792
	ds_write_b128 v52, v[8:11] offset:21600
	;; [unrolled: 10-line block ×13, first 2 shown]
	s_waitcnt vmcnt(0) lgkmcnt(1)
	v_mul_f64 v[8:9], v[2:3], v[6:7]
	v_fma_f64 v[8:9], v[0:1], v[4:5], -v[8:9]
	v_mul_f64 v[0:1], v[0:1], v[6:7]
	v_fma_f64 v[10:11], v[2:3], v[4:5], v[0:1]
	ds_write_b128 v52, v[8:11] offset:30240
	s_waitcnt lgkmcnt(0)
	s_barrier
	buffer_gl0_inv
	ds_read_b128 v[0:3], v52
	ds_read_b128 v[4:7], v52 offset:10800
	ds_read_b128 v[8:11], v52 offset:21600
	;; [unrolled: 1-line block ×14, first 2 shown]
	s_waitcnt lgkmcnt(0)
	s_barrier
	buffer_gl0_inv
	v_add_f64 v[61:62], v[0:1], v[4:5]
	v_add_f64 v[63:64], v[4:5], v[8:9]
	v_add_f64 v[65:66], v[6:7], -v[10:11]
	v_add_f64 v[4:5], v[4:5], -v[8:9]
	v_add_f64 v[61:62], v[61:62], v[8:9]
	v_fma_f64 v[63:64], v[63:64], -0.5, v[0:1]
	v_fma_f64 v[0:1], v[65:66], s[4:5], v[63:64]
	v_fma_f64 v[65:66], v[65:66], s[2:3], v[63:64]
	v_add_f64 v[63:64], v[2:3], v[6:7]
	v_add_f64 v[6:7], v[6:7], v[10:11]
	;; [unrolled: 1-line block ×3, first 2 shown]
	v_fma_f64 v[6:7], v[6:7], -0.5, v[2:3]
	v_add_f64 v[10:11], v[18:19], -v[22:23]
	v_fma_f64 v[2:3], v[4:5], s[2:3], v[6:7]
	v_fma_f64 v[67:68], v[4:5], s[4:5], v[6:7]
	v_add_f64 v[6:7], v[16:17], v[20:21]
	v_add_f64 v[4:5], v[12:13], v[16:17]
	v_add_f64 v[16:17], v[16:17], -v[20:21]
	v_fma_f64 v[6:7], v[6:7], -0.5, v[12:13]
	v_add_f64 v[4:5], v[4:5], v[20:21]
	v_fma_f64 v[8:9], v[10:11], s[4:5], v[6:7]
	v_fma_f64 v[12:13], v[10:11], s[2:3], v[6:7]
	v_add_f64 v[6:7], v[14:15], v[18:19]
	v_add_f64 v[10:11], v[18:19], v[22:23]
	;; [unrolled: 1-line block ×4, first 2 shown]
	v_fma_f64 v[14:15], v[10:11], -0.5, v[14:15]
	v_fma_f64 v[18:19], v[18:19], -0.5, v[24:25]
	v_add_f64 v[22:23], v[30:31], -v[34:35]
	v_fma_f64 v[10:11], v[16:17], s[2:3], v[14:15]
	v_fma_f64 v[14:15], v[16:17], s[4:5], v[14:15]
	v_add_f64 v[16:17], v[24:25], v[28:29]
	v_fma_f64 v[20:21], v[22:23], s[4:5], v[18:19]
	v_fma_f64 v[24:25], v[22:23], s[2:3], v[18:19]
	v_add_f64 v[18:19], v[26:27], v[30:31]
	v_add_f64 v[22:23], v[30:31], v[34:35]
	;; [unrolled: 1-line block ×3, first 2 shown]
	v_add_f64 v[28:29], v[28:29], -v[32:33]
	v_add_f64 v[16:17], v[16:17], v[32:33]
	v_add_f64 v[18:19], v[18:19], v[34:35]
	v_fma_f64 v[26:27], v[22:23], -0.5, v[26:27]
	v_fma_f64 v[30:31], v[30:31], -0.5, v[36:37]
	v_add_f64 v[34:35], v[42:43], -v[46:47]
	v_fma_f64 v[22:23], v[28:29], s[2:3], v[26:27]
	v_fma_f64 v[26:27], v[28:29], s[4:5], v[26:27]
	v_add_f64 v[28:29], v[36:37], v[40:41]
	v_fma_f64 v[32:33], v[34:35], s[4:5], v[30:31]
	v_fma_f64 v[36:37], v[34:35], s[2:3], v[30:31]
	v_add_f64 v[30:31], v[38:39], v[42:43]
	v_add_f64 v[34:35], v[42:43], v[46:47]
	;; [unrolled: 1-line block ×3, first 2 shown]
	v_add_f64 v[40:41], v[40:41], -v[44:45]
	v_add_f64 v[28:29], v[28:29], v[44:45]
	v_add_f64 v[30:31], v[30:31], v[46:47]
	v_fma_f64 v[38:39], v[34:35], -0.5, v[38:39]
	v_fma_f64 v[42:43], v[42:43], -0.5, v[48:49]
	v_add_f64 v[46:47], v[55:56], -v[59:60]
	v_fma_f64 v[34:35], v[40:41], s[2:3], v[38:39]
	v_fma_f64 v[38:39], v[40:41], s[4:5], v[38:39]
	v_add_f64 v[40:41], v[48:49], v[53:54]
	v_fma_f64 v[44:45], v[46:47], s[4:5], v[42:43]
	v_fma_f64 v[48:49], v[46:47], s[2:3], v[42:43]
	v_add_f64 v[46:47], v[55:56], v[59:60]
	v_add_f64 v[42:43], v[50:51], v[55:56]
	v_add_f64 v[53:54], v[53:54], -v[57:58]
	v_add_f64 v[40:41], v[40:41], v[57:58]
	v_fma_f64 v[50:51], v[46:47], -0.5, v[50:51]
	v_add_f64 v[42:43], v[42:43], v[59:60]
	v_fma_f64 v[46:47], v[53:54], s[2:3], v[50:51]
	v_fma_f64 v[50:51], v[53:54], s[4:5], v[50:51]
	buffer_load_dword v53, off, s[24:27], 0 offset:300 ; 4-byte Folded Reload
	s_waitcnt vmcnt(0)
	ds_write_b128 v53, v[61:64]
	ds_write_b128 v53, v[0:3] offset:16
	ds_write_b128 v53, v[65:68] offset:32
	buffer_load_dword v0, off, s[24:27], 0 offset:296 ; 4-byte Folded Reload
	s_waitcnt vmcnt(0)
	ds_write_b128 v0, v[4:7]
	ds_write_b128 v0, v[8:11] offset:16
	ds_write_b128 v0, v[12:15] offset:32
	;; [unrolled: 5-line block ×5, first 2 shown]
	s_waitcnt lgkmcnt(0)
	s_barrier
	buffer_gl0_inv
	ds_read_b128 v[0:3], v52
	ds_read_b128 v[4:7], v52 offset:10800
	ds_read_b128 v[8:11], v52 offset:21600
	ds_read_b128 v[12:15], v52 offset:2160
	ds_read_b128 v[16:19], v52 offset:12960
	ds_read_b128 v[20:23], v52 offset:23760
	ds_read_b128 v[24:27], v52 offset:4320
	ds_read_b128 v[28:31], v52 offset:15120
	ds_read_b128 v[32:35], v52 offset:25920
	ds_read_b128 v[36:39], v52 offset:6480
	ds_read_b128 v[40:43], v52 offset:17280
	ds_read_b128 v[44:47], v52 offset:28080
	ds_read_b128 v[48:51], v52 offset:8640
	ds_read_b128 v[53:56], v52 offset:19440
	ds_read_b128 v[57:60], v52 offset:30240
	s_clause 0x7
	buffer_load_dword v63, off, s[24:27], 0 offset:268
	buffer_load_dword v64, off, s[24:27], 0 offset:272
	;; [unrolled: 1-line block ×8, first 2 shown]
	s_waitcnt vmcnt(4) lgkmcnt(13)
	v_mul_f64 v[61:62], v[65:66], v[6:7]
	v_fma_f64 v[61:62], v[63:64], v[4:5], v[61:62]
	v_mul_f64 v[4:5], v[65:66], v[4:5]
	v_fma_f64 v[63:64], v[63:64], v[6:7], -v[4:5]
	s_waitcnt vmcnt(0) lgkmcnt(12)
	v_mul_f64 v[4:5], v[69:70], v[10:11]
	v_fma_f64 v[65:66], v[67:68], v[8:9], v[4:5]
	v_mul_f64 v[4:5], v[69:70], v[8:9]
	s_clause 0x3
	buffer_load_dword v6, off, s[24:27], 0 offset:304
	buffer_load_dword v7, off, s[24:27], 0 offset:308
	;; [unrolled: 1-line block ×4, first 2 shown]
	v_fma_f64 v[10:11], v[67:68], v[10:11], -v[4:5]
	s_waitcnt vmcnt(0) lgkmcnt(10)
	v_mul_f64 v[4:5], v[8:9], v[18:19]
	v_fma_f64 v[67:68], v[6:7], v[16:17], v[4:5]
	v_mul_f64 v[4:5], v[8:9], v[16:17]
	v_add_f64 v[16:17], v[61:62], -v[65:66]
	v_fma_f64 v[69:70], v[6:7], v[18:19], -v[4:5]
	s_clause 0x3
	buffer_load_dword v6, off, s[24:27], 0 offset:320
	buffer_load_dword v7, off, s[24:27], 0 offset:324
	buffer_load_dword v8, off, s[24:27], 0 offset:328
	buffer_load_dword v9, off, s[24:27], 0 offset:332
	s_waitcnt vmcnt(0) lgkmcnt(9)
	v_mul_f64 v[4:5], v[8:9], v[22:23]
	v_fma_f64 v[71:72], v[6:7], v[20:21], v[4:5]
	v_mul_f64 v[4:5], v[8:9], v[20:21]
	v_add_f64 v[18:19], v[67:68], v[71:72]
	v_fma_f64 v[22:23], v[6:7], v[22:23], -v[4:5]
	s_clause 0x3
	buffer_load_dword v6, off, s[24:27], 0 offset:352
	buffer_load_dword v7, off, s[24:27], 0 offset:356
	buffer_load_dword v8, off, s[24:27], 0 offset:360
	buffer_load_dword v9, off, s[24:27], 0 offset:364
	v_fma_f64 v[18:19], v[18:19], -0.5, v[12:13]
	v_add_f64 v[20:21], v[69:70], -v[22:23]
	s_waitcnt vmcnt(0) lgkmcnt(7)
	v_mul_f64 v[4:5], v[8:9], v[30:31]
	v_fma_f64 v[73:74], v[6:7], v[28:29], v[4:5]
	v_mul_f64 v[4:5], v[8:9], v[28:29]
	v_add_f64 v[28:29], v[67:68], -v[71:72]
	v_fma_f64 v[75:76], v[6:7], v[30:31], -v[4:5]
	s_clause 0x3
	buffer_load_dword v6, off, s[24:27], 0 offset:336
	buffer_load_dword v7, off, s[24:27], 0 offset:340
	buffer_load_dword v8, off, s[24:27], 0 offset:344
	buffer_load_dword v9, off, s[24:27], 0 offset:348
	s_waitcnt vmcnt(0) lgkmcnt(6)
	v_mul_f64 v[4:5], v[8:9], v[34:35]
	v_fma_f64 v[77:78], v[6:7], v[32:33], v[4:5]
	v_mul_f64 v[4:5], v[8:9], v[32:33]
	v_add_f64 v[30:31], v[73:74], v[77:78]
	v_fma_f64 v[34:35], v[6:7], v[34:35], -v[4:5]
	s_clause 0x3
	buffer_load_dword v6, off, s[24:27], 0 offset:368
	buffer_load_dword v7, off, s[24:27], 0 offset:372
	buffer_load_dword v8, off, s[24:27], 0 offset:376
	buffer_load_dword v9, off, s[24:27], 0 offset:380
	v_fma_f64 v[30:31], v[30:31], -0.5, v[24:25]
	v_add_f64 v[32:33], v[75:76], -v[34:35]
	;; [unrolled: 24-line block ×3, first 2 shown]
	s_waitcnt vmcnt(0) lgkmcnt(1)
	v_mul_f64 v[4:5], v[8:9], v[55:56]
	v_fma_f64 v[85:86], v[6:7], v[53:54], v[4:5]
	v_mul_f64 v[4:5], v[8:9], v[53:54]
	v_add_f64 v[53:54], v[79:80], -v[83:84]
	v_fma_f64 v[87:88], v[6:7], v[55:56], -v[4:5]
	s_clause 0x3
	buffer_load_dword v6, off, s[24:27], 0 offset:468
	buffer_load_dword v7, off, s[24:27], 0 offset:472
	;; [unrolled: 1-line block ×4, first 2 shown]
	s_waitcnt vmcnt(0) lgkmcnt(0)
	s_barrier
	buffer_gl0_inv
	v_mul_f64 v[4:5], v[8:9], v[59:60]
	v_fma_f64 v[89:90], v[6:7], v[57:58], v[4:5]
	v_mul_f64 v[4:5], v[8:9], v[57:58]
	v_add_f64 v[8:9], v[63:64], -v[10:11]
	v_add_f64 v[55:56], v[85:86], v[89:90]
	v_fma_f64 v[59:60], v[6:7], v[59:60], -v[4:5]
	v_add_f64 v[6:7], v[61:62], v[65:66]
	v_add_f64 v[4:5], v[0:1], v[61:62]
	v_add_f64 v[61:62], v[85:86], -v[89:90]
	v_fma_f64 v[55:56], v[55:56], -0.5, v[48:49]
	v_add_f64 v[57:58], v[87:88], -v[59:60]
	v_fma_f64 v[6:7], v[6:7], -0.5, v[0:1]
	v_add_f64 v[4:5], v[4:5], v[65:66]
	v_fma_f64 v[0:1], v[8:9], s[4:5], v[6:7]
	v_fma_f64 v[8:9], v[8:9], s[2:3], v[6:7]
	v_add_f64 v[6:7], v[2:3], v[63:64]
	v_add_f64 v[6:7], v[6:7], v[10:11]
	v_add_f64 v[10:11], v[63:64], v[10:11]
	v_fma_f64 v[10:11], v[10:11], -0.5, v[2:3]
	v_fma_f64 v[2:3], v[16:17], s[2:3], v[10:11]
	v_fma_f64 v[10:11], v[16:17], s[4:5], v[10:11]
	v_add_f64 v[16:17], v[12:13], v[67:68]
	v_fma_f64 v[12:13], v[20:21], s[4:5], v[18:19]
	v_fma_f64 v[20:21], v[20:21], s[2:3], v[18:19]
	v_add_f64 v[18:19], v[14:15], v[69:70]
	v_add_f64 v[16:17], v[16:17], v[71:72]
	v_add_f64 v[18:19], v[18:19], v[22:23]
	v_add_f64 v[22:23], v[69:70], v[22:23]
	v_fma_f64 v[22:23], v[22:23], -0.5, v[14:15]
	v_fma_f64 v[14:15], v[28:29], s[2:3], v[22:23]
	v_fma_f64 v[22:23], v[28:29], s[4:5], v[22:23]
	v_add_f64 v[28:29], v[24:25], v[73:74]
	v_fma_f64 v[24:25], v[32:33], s[4:5], v[30:31]
	v_fma_f64 v[32:33], v[32:33], s[2:3], v[30:31]
	v_add_f64 v[30:31], v[26:27], v[75:76]
	;; [unrolled: 10-line block ×4, first 2 shown]
	v_add_f64 v[53:54], v[53:54], v[89:90]
	v_add_f64 v[55:56], v[55:56], v[59:60]
	;; [unrolled: 1-line block ×3, first 2 shown]
	v_fma_f64 v[59:60], v[59:60], -0.5, v[50:51]
	v_fma_f64 v[50:51], v[61:62], s[2:3], v[59:60]
	v_fma_f64 v[59:60], v[61:62], s[4:5], v[59:60]
	buffer_load_dword v61, off, s[24:27], 0 offset:488 ; 4-byte Folded Reload
	s_waitcnt vmcnt(0)
	ds_write_b128 v61, v[4:7]
	ds_write_b128 v61, v[0:3] offset:48
	ds_write_b128 v61, v[8:11] offset:96
	buffer_load_dword v0, off, s[24:27], 0 offset:464 ; 4-byte Folded Reload
	s_waitcnt vmcnt(0)
	ds_write_b128 v0, v[16:19]
	ds_write_b128 v0, v[12:15] offset:48
	ds_write_b128 v0, v[20:23] offset:96
	ds_write_b128 v103, v[28:31]
	ds_write_b128 v103, v[24:27] offset:48
	ds_write_b128 v103, v[32:35] offset:96
	;; [unrolled: 3-line block ×4, first 2 shown]
	s_waitcnt lgkmcnt(0)
	s_barrier
	buffer_gl0_inv
	ds_read_b128 v[0:3], v52
	ds_read_b128 v[12:15], v52 offset:6480
	ds_read_b128 v[16:19], v52 offset:12960
	;; [unrolled: 1-line block ×14, first 2 shown]
	s_clause 0x3
	buffer_load_dword v63, off, s[24:27], 0 offset:432
	buffer_load_dword v64, off, s[24:27], 0 offset:436
	;; [unrolled: 1-line block ×4, first 2 shown]
	s_waitcnt lgkmcnt(13)
	v_mul_f64 v[61:62], v[114:115], v[14:15]
	v_fma_f64 v[61:62], v[112:113], v[12:13], v[61:62]
	v_mul_f64 v[12:13], v[114:115], v[12:13]
	v_fma_f64 v[12:13], v[112:113], v[14:15], -v[12:13]
	s_waitcnt vmcnt(0) lgkmcnt(12)
	v_mul_f64 v[14:15], v[65:66], v[18:19]
	v_fma_f64 v[14:15], v[63:64], v[16:17], v[14:15]
	v_mul_f64 v[16:17], v[65:66], v[16:17]
	v_add_f64 v[69:70], v[61:62], -v[14:15]
	v_fma_f64 v[16:17], v[63:64], v[18:19], -v[16:17]
	s_clause 0x3
	buffer_load_dword v63, off, s[24:27], 0 offset:416
	buffer_load_dword v64, off, s[24:27], 0 offset:420
	;; [unrolled: 1-line block ×4, first 2 shown]
	s_waitcnt vmcnt(0) lgkmcnt(11)
	v_mul_f64 v[18:19], v[65:66], v[22:23]
	v_fma_f64 v[18:19], v[63:64], v[20:21], v[18:19]
	v_mul_f64 v[20:21], v[65:66], v[20:21]
	v_fma_f64 v[20:21], v[63:64], v[22:23], -v[20:21]
	s_clause 0x3
	buffer_load_dword v63, off, s[24:27], 0 offset:400
	buffer_load_dword v64, off, s[24:27], 0 offset:404
	;; [unrolled: 1-line block ×4, first 2 shown]
	s_waitcnt vmcnt(0) lgkmcnt(0)
	s_barrier
	buffer_gl0_inv
	v_add_f64 v[67:68], v[16:17], -v[20:21]
	v_mul_f64 v[22:23], v[65:66], v[26:27]
	v_fma_f64 v[22:23], v[63:64], v[24:25], v[22:23]
	v_mul_f64 v[24:25], v[65:66], v[24:25]
	v_add_f64 v[71:72], v[22:23], -v[18:19]
	v_fma_f64 v[24:25], v[63:64], v[26:27], -v[24:25]
	v_mul_f64 v[26:27], v[142:143], v[30:31]
	v_add_f64 v[69:70], v[69:70], v[71:72]
	v_add_f64 v[63:64], v[12:13], -v[24:25]
	v_fma_f64 v[26:27], v[140:141], v[28:29], v[26:27]
	v_mul_f64 v[28:29], v[142:143], v[28:29]
	v_fma_f64 v[28:29], v[140:141], v[30:31], -v[28:29]
	v_mul_f64 v[30:31], v[93:94], v[34:35]
	v_fma_f64 v[30:31], v[91:92], v[32:33], v[30:31]
	v_mul_f64 v[32:33], v[93:94], v[32:33]
	v_fma_f64 v[32:33], v[91:92], v[34:35], -v[32:33]
	v_mul_f64 v[34:35], v[97:98], v[38:39]
	;; [unrolled: 4-line block ×7, first 2 shown]
	v_fma_f64 v[55:56], v[156:157], v[57:58], v[55:56]
	v_mul_f64 v[57:58], v[158:159], v[57:58]
	v_fma_f64 v[57:58], v[156:157], v[59:60], -v[57:58]
	v_add_f64 v[59:60], v[0:1], v[61:62]
	v_add_f64 v[59:60], v[59:60], v[14:15]
	;; [unrolled: 1-line block ×5, first 2 shown]
	v_fma_f64 v[59:60], v[59:60], -0.5, v[0:1]
	v_fma_f64 v[65:66], v[63:64], s[18:19], v[59:60]
	v_fma_f64 v[59:60], v[63:64], s[6:7], v[59:60]
	;; [unrolled: 1-line block ×6, first 2 shown]
	v_add_f64 v[59:60], v[61:62], v[22:23]
	v_add_f64 v[65:66], v[14:15], -v[61:62]
	v_add_f64 v[69:70], v[18:19], -v[22:23]
	;; [unrolled: 1-line block ×5, first 2 shown]
	v_fma_f64 v[0:1], v[59:60], -0.5, v[0:1]
	v_add_f64 v[65:66], v[65:66], v[69:70]
	v_fma_f64 v[59:60], v[67:68], s[6:7], v[0:1]
	v_fma_f64 v[0:1], v[67:68], s[18:19], v[0:1]
	;; [unrolled: 1-line block ×6, first 2 shown]
	v_add_f64 v[0:1], v[2:3], v[12:13]
	v_add_f64 v[0:1], v[0:1], v[16:17]
	;; [unrolled: 1-line block ×5, first 2 shown]
	v_fma_f64 v[0:1], v[0:1], -0.5, v[2:3]
	v_fma_f64 v[59:60], v[22:23], s[6:7], v[0:1]
	v_fma_f64 v[0:1], v[22:23], s[18:19], v[0:1]
	;; [unrolled: 1-line block ×3, first 2 shown]
	v_add_f64 v[59:60], v[12:13], -v[16:17]
	v_fma_f64 v[0:1], v[14:15], s[16:17], v[0:1]
	v_add_f64 v[59:60], v[59:60], v[61:62]
	v_fma_f64 v[82:83], v[59:60], s[14:15], v[0:1]
	v_add_f64 v[0:1], v[12:13], v[24:25]
	v_add_f64 v[12:13], v[16:17], -v[12:13]
	v_add_f64 v[16:17], v[20:21], -v[24:25]
	v_fma_f64 v[90:91], v[59:60], s[14:15], v[18:19]
	v_add_f64 v[18:19], v[38:39], -v[34:35]
	v_fma_f64 v[0:1], v[0:1], -0.5, v[2:3]
	v_add_f64 v[12:13], v[12:13], v[16:17]
	v_add_f64 v[16:17], v[26:27], -v[30:31]
	v_fma_f64 v[2:3], v[14:15], s[18:19], v[0:1]
	v_fma_f64 v[0:1], v[14:15], s[6:7], v[0:1]
	v_add_f64 v[14:15], v[32:33], -v[36:37]
	v_add_f64 v[16:17], v[16:17], v[18:19]
	v_add_f64 v[18:19], v[34:35], -v[38:39]
	v_fma_f64 v[2:3], v[22:23], s[8:9], v[2:3]
	v_fma_f64 v[0:1], v[22:23], s[16:17], v[0:1]
	;; [unrolled: 1-line block ×4, first 2 shown]
	v_add_f64 v[0:1], v[8:9], v[26:27]
	v_add_f64 v[2:3], v[28:29], -v[40:41]
	v_add_f64 v[0:1], v[0:1], v[30:31]
	v_add_f64 v[0:1], v[0:1], v[34:35]
	;; [unrolled: 1-line block ×4, first 2 shown]
	v_fma_f64 v[0:1], v[0:1], -0.5, v[8:9]
	v_fma_f64 v[12:13], v[2:3], s[18:19], v[0:1]
	v_fma_f64 v[0:1], v[2:3], s[6:7], v[0:1]
	;; [unrolled: 1-line block ×5, first 2 shown]
	v_add_f64 v[12:13], v[26:27], v[38:39]
	v_fma_f64 v[0:1], v[16:17], s[14:15], v[0:1]
	v_add_f64 v[16:17], v[30:31], -v[26:27]
	v_fma_f64 v[8:9], v[12:13], -0.5, v[8:9]
	v_add_f64 v[16:17], v[16:17], v[18:19]
	v_add_f64 v[18:19], v[40:41], -v[36:37]
	v_fma_f64 v[12:13], v[14:15], s[6:7], v[8:9]
	v_fma_f64 v[8:9], v[14:15], s[18:19], v[8:9]
	v_add_f64 v[14:15], v[30:31], -v[34:35]
	v_fma_f64 v[12:13], v[2:3], s[16:17], v[12:13]
	v_fma_f64 v[2:3], v[2:3], s[8:9], v[8:9]
	;; [unrolled: 3-line block ×3, first 2 shown]
	v_add_f64 v[2:3], v[10:11], v[28:29]
	v_add_f64 v[16:17], v[28:29], -v[32:33]
	v_add_f64 v[2:3], v[2:3], v[32:33]
	v_add_f64 v[16:17], v[16:17], v[18:19]
	v_add_f64 v[18:19], v[36:37], -v[40:41]
	v_add_f64 v[2:3], v[2:3], v[36:37]
	v_add_f64 v[94:95], v[2:3], v[40:41]
	;; [unrolled: 1-line block ×3, first 2 shown]
	v_fma_f64 v[2:3], v[2:3], -0.5, v[10:11]
	v_fma_f64 v[12:13], v[8:9], s[6:7], v[2:3]
	v_fma_f64 v[2:3], v[8:9], s[18:19], v[2:3]
	;; [unrolled: 1-line block ×5, first 2 shown]
	v_add_f64 v[12:13], v[28:29], v[40:41]
	v_fma_f64 v[2:3], v[16:17], s[14:15], v[2:3]
	v_add_f64 v[16:17], v[32:33], -v[28:29]
	v_fma_f64 v[10:11], v[12:13], -0.5, v[10:11]
	v_add_f64 v[16:17], v[16:17], v[18:19]
	v_add_f64 v[18:19], v[55:56], -v[50:51]
	v_fma_f64 v[12:13], v[14:15], s[18:19], v[10:11]
	v_fma_f64 v[10:11], v[14:15], s[6:7], v[10:11]
	v_add_f64 v[14:15], v[48:49], -v[53:54]
	v_fma_f64 v[12:13], v[8:9], s[8:9], v[12:13]
	v_fma_f64 v[8:9], v[8:9], s[16:17], v[10:11]
	;; [unrolled: 3-line block ×3, first 2 shown]
	v_add_f64 v[8:9], v[4:5], v[42:43]
	v_add_f64 v[16:17], v[42:43], -v[46:47]
	v_add_f64 v[8:9], v[8:9], v[46:47]
	v_add_f64 v[16:17], v[16:17], v[18:19]
	;; [unrolled: 1-line block ×5, first 2 shown]
	v_fma_f64 v[8:9], v[8:9], -0.5, v[4:5]
	v_fma_f64 v[12:13], v[10:11], s[18:19], v[8:9]
	v_fma_f64 v[8:9], v[10:11], s[6:7], v[8:9]
	;; [unrolled: 1-line block ×6, first 2 shown]
	v_add_f64 v[8:9], v[42:43], v[55:56]
	v_add_f64 v[12:13], v[46:47], -v[42:43]
	v_add_f64 v[16:17], v[50:51], -v[55:56]
	v_fma_f64 v[4:5], v[8:9], -0.5, v[4:5]
	v_add_f64 v[12:13], v[12:13], v[16:17]
	v_add_f64 v[16:17], v[57:58], -v[53:54]
	v_fma_f64 v[8:9], v[14:15], s[6:7], v[4:5]
	v_fma_f64 v[4:5], v[14:15], s[18:19], v[4:5]
	v_add_f64 v[14:15], v[44:45], -v[48:49]
	v_fma_f64 v[8:9], v[10:11], s[16:17], v[8:9]
	v_fma_f64 v[4:5], v[10:11], s[8:9], v[4:5]
	v_add_f64 v[14:15], v[14:15], v[16:17]
	v_fma_f64 v[76:77], v[12:13], s[14:15], v[8:9]
	v_fma_f64 v[72:73], v[12:13], s[14:15], v[4:5]
	v_add_f64 v[4:5], v[6:7], v[44:45]
	v_add_f64 v[8:9], v[42:43], -v[55:56]
	v_add_f64 v[12:13], v[46:47], -v[50:51]
	v_add_f64 v[4:5], v[4:5], v[48:49]
	v_add_f64 v[4:5], v[4:5], v[53:54]
	;; [unrolled: 1-line block ×4, first 2 shown]
	v_fma_f64 v[4:5], v[4:5], -0.5, v[6:7]
	v_fma_f64 v[10:11], v[8:9], s[6:7], v[4:5]
	v_fma_f64 v[4:5], v[8:9], s[18:19], v[4:5]
	;; [unrolled: 1-line block ×6, first 2 shown]
	v_add_f64 v[4:5], v[44:45], v[57:58]
	v_add_f64 v[10:11], v[48:49], -v[44:45]
	v_add_f64 v[14:15], v[53:54], -v[57:58]
	v_fma_f64 v[4:5], v[4:5], -0.5, v[6:7]
	v_add_f64 v[10:11], v[10:11], v[14:15]
	v_fma_f64 v[6:7], v[12:13], s[18:19], v[4:5]
	v_fma_f64 v[4:5], v[12:13], s[6:7], v[4:5]
	;; [unrolled: 1-line block ×6, first 2 shown]
	buffer_load_dword v4, off, s[24:27], 0 offset:536 ; 4-byte Folded Reload
	s_waitcnt vmcnt(0)
	ds_write_b128 v4, v[84:87]
	ds_write_b128 v4, v[88:91] offset:144
	ds_write_b128 v4, v[104:107] offset:288
	ds_write_b128 v4, v[100:103] offset:432
	ds_write_b128 v4, v[80:83] offset:576
	buffer_load_dword v4, off, s[24:27], 0 offset:532 ; 4-byte Folded Reload
	s_waitcnt vmcnt(0)
	ds_write_b128 v4, v[92:95]
	ds_write_b128 v4, v[96:99] offset:144
	ds_write_b128 v4, v[112:115] offset:288
	ds_write_b128 v4, v[108:111] offset:432
	ds_write_b128 v4, v[0:3] offset:576
	;; [unrolled: 7-line block ×3, first 2 shown]
	s_waitcnt lgkmcnt(0)
	s_barrier
	buffer_gl0_inv
	ds_read_b128 v[0:3], v52
	ds_read_b128 v[12:15], v52 offset:6480
	ds_read_b128 v[16:19], v52 offset:12960
	;; [unrolled: 1-line block ×14, first 2 shown]
	s_clause 0x3
	buffer_load_dword v63, off, s[24:27], 0 offset:496
	buffer_load_dword v64, off, s[24:27], 0 offset:500
	;; [unrolled: 1-line block ×4, first 2 shown]
	s_waitcnt lgkmcnt(13)
	v_mul_f64 v[61:62], v[154:155], v[14:15]
	v_fma_f64 v[61:62], v[152:153], v[12:13], v[61:62]
	v_mul_f64 v[12:13], v[154:155], v[12:13]
	v_fma_f64 v[12:13], v[152:153], v[14:15], -v[12:13]
	s_waitcnt lgkmcnt(12)
	v_mul_f64 v[14:15], v[138:139], v[18:19]
	v_fma_f64 v[14:15], v[136:137], v[16:17], v[14:15]
	v_mul_f64 v[16:17], v[138:139], v[16:17]
	v_add_f64 v[69:70], v[61:62], -v[14:15]
	v_fma_f64 v[16:17], v[136:137], v[18:19], -v[16:17]
	s_waitcnt vmcnt(0) lgkmcnt(11)
	v_mul_f64 v[18:19], v[65:66], v[22:23]
	v_fma_f64 v[18:19], v[63:64], v[20:21], v[18:19]
	v_mul_f64 v[20:21], v[65:66], v[20:21]
	v_fma_f64 v[20:21], v[63:64], v[22:23], -v[20:21]
	s_clause 0x3
	buffer_load_dword v63, off, s[24:27], 0 offset:512
	buffer_load_dword v64, off, s[24:27], 0 offset:516
	;; [unrolled: 1-line block ×4, first 2 shown]
	s_waitcnt vmcnt(0) lgkmcnt(0)
	s_barrier
	buffer_gl0_inv
	v_add_f64 v[67:68], v[16:17], -v[20:21]
	v_mul_f64 v[22:23], v[65:66], v[26:27]
	v_fma_f64 v[22:23], v[63:64], v[24:25], v[22:23]
	v_mul_f64 v[24:25], v[65:66], v[24:25]
	v_add_f64 v[71:72], v[22:23], -v[18:19]
	v_fma_f64 v[24:25], v[63:64], v[26:27], -v[24:25]
	v_mul_f64 v[26:27], v[194:195], v[30:31]
	v_add_f64 v[69:70], v[69:70], v[71:72]
	v_add_f64 v[63:64], v[12:13], -v[24:25]
	v_fma_f64 v[26:27], v[192:193], v[28:29], v[26:27]
	v_mul_f64 v[28:29], v[194:195], v[28:29]
	v_fma_f64 v[28:29], v[192:193], v[30:31], -v[28:29]
	v_mul_f64 v[30:31], v[182:183], v[34:35]
	v_fma_f64 v[30:31], v[180:181], v[32:33], v[30:31]
	v_mul_f64 v[32:33], v[182:183], v[32:33]
	v_fma_f64 v[32:33], v[180:181], v[34:35], -v[32:33]
	v_mul_f64 v[34:35], v[166:167], v[38:39]
	;; [unrolled: 4-line block ×7, first 2 shown]
	v_fma_f64 v[55:56], v[204:205], v[57:58], v[55:56]
	v_mul_f64 v[57:58], v[206:207], v[57:58]
	v_fma_f64 v[57:58], v[204:205], v[59:60], -v[57:58]
	v_add_f64 v[59:60], v[0:1], v[61:62]
	v_add_f64 v[59:60], v[59:60], v[14:15]
	;; [unrolled: 1-line block ×5, first 2 shown]
	v_fma_f64 v[59:60], v[59:60], -0.5, v[0:1]
	v_fma_f64 v[65:66], v[63:64], s[18:19], v[59:60]
	v_fma_f64 v[59:60], v[63:64], s[6:7], v[59:60]
	;; [unrolled: 1-line block ×6, first 2 shown]
	v_add_f64 v[59:60], v[61:62], v[22:23]
	v_add_f64 v[65:66], v[14:15], -v[61:62]
	v_add_f64 v[69:70], v[18:19], -v[22:23]
	;; [unrolled: 1-line block ×4, first 2 shown]
	v_fma_f64 v[0:1], v[59:60], -0.5, v[0:1]
	v_add_f64 v[65:66], v[65:66], v[69:70]
	v_fma_f64 v[59:60], v[67:68], s[6:7], v[0:1]
	v_fma_f64 v[0:1], v[67:68], s[18:19], v[0:1]
	;; [unrolled: 1-line block ×4, first 2 shown]
	v_add_f64 v[63:64], v[24:25], -v[20:21]
	v_fma_f64 v[112:113], v[65:66], s[14:15], v[59:60]
	v_add_f64 v[59:60], v[2:3], v[12:13]
	v_fma_f64 v[0:1], v[65:66], s[14:15], v[0:1]
	v_add_f64 v[59:60], v[59:60], v[16:17]
	v_add_f64 v[59:60], v[59:60], v[20:21]
	;; [unrolled: 1-line block ×4, first 2 shown]
	v_fma_f64 v[59:60], v[59:60], -0.5, v[2:3]
	v_fma_f64 v[61:62], v[22:23], s[6:7], v[59:60]
	v_fma_f64 v[18:19], v[14:15], s[8:9], v[61:62]
	v_add_f64 v[61:62], v[12:13], -v[16:17]
	v_add_f64 v[61:62], v[61:62], v[63:64]
	v_fma_f64 v[90:91], v[61:62], s[14:15], v[18:19]
	v_fma_f64 v[18:19], v[22:23], s[18:19], v[59:60]
	;; [unrolled: 1-line block ×4, first 2 shown]
	v_add_f64 v[18:19], v[12:13], v[24:25]
	v_add_f64 v[12:13], v[16:17], -v[12:13]
	v_add_f64 v[16:17], v[20:21], -v[24:25]
	;; [unrolled: 1-line block ×3, first 2 shown]
	v_fma_f64 v[2:3], v[18:19], -0.5, v[2:3]
	v_add_f64 v[12:13], v[12:13], v[16:17]
	v_fma_f64 v[18:19], v[14:15], s[18:19], v[2:3]
	v_fma_f64 v[2:3], v[14:15], s[6:7], v[2:3]
	v_add_f64 v[14:15], v[28:29], -v[40:41]
	v_fma_f64 v[18:19], v[22:23], s[8:9], v[18:19]
	v_fma_f64 v[2:3], v[22:23], s[16:17], v[2:3]
	v_add_f64 v[22:23], v[38:39], -v[34:35]
	v_fma_f64 v[114:115], v[12:13], s[14:15], v[18:19]
	v_fma_f64 v[2:3], v[12:13], s[14:15], v[2:3]
	v_add_f64 v[12:13], v[8:9], v[26:27]
	v_add_f64 v[18:19], v[32:33], -v[36:37]
	v_add_f64 v[20:21], v[20:21], v[22:23]
	v_add_f64 v[12:13], v[12:13], v[30:31]
	v_add_f64 v[12:13], v[12:13], v[34:35]
	v_add_f64 v[96:97], v[12:13], v[38:39]
	v_add_f64 v[12:13], v[30:31], v[34:35]
	v_fma_f64 v[12:13], v[12:13], -0.5, v[8:9]
	v_fma_f64 v[16:17], v[14:15], s[18:19], v[12:13]
	v_fma_f64 v[12:13], v[14:15], s[6:7], v[12:13]
	v_fma_f64 v[16:17], v[18:19], s[16:17], v[16:17]
	v_fma_f64 v[12:13], v[18:19], s[8:9], v[12:13]
	v_fma_f64 v[100:101], v[20:21], s[14:15], v[16:17]
	v_fma_f64 v[92:93], v[20:21], s[14:15], v[12:13]
	v_add_f64 v[12:13], v[26:27], v[38:39]
	v_add_f64 v[16:17], v[30:31], -v[26:27]
	v_add_f64 v[20:21], v[34:35], -v[38:39]
	v_fma_f64 v[8:9], v[12:13], -0.5, v[8:9]
	v_add_f64 v[16:17], v[16:17], v[20:21]
	v_add_f64 v[20:21], v[40:41], -v[36:37]
	v_fma_f64 v[12:13], v[18:19], s[6:7], v[8:9]
	v_fma_f64 v[8:9], v[18:19], s[18:19], v[8:9]
	v_add_f64 v[18:19], v[28:29], -v[32:33]
	v_fma_f64 v[12:13], v[14:15], s[16:17], v[12:13]
	v_fma_f64 v[8:9], v[14:15], s[8:9], v[8:9]
	v_add_f64 v[18:19], v[18:19], v[20:21]
	v_fma_f64 v[108:109], v[16:17], s[14:15], v[12:13]
	v_fma_f64 v[104:105], v[16:17], s[14:15], v[8:9]
	v_add_f64 v[8:9], v[10:11], v[28:29]
	v_add_f64 v[12:13], v[26:27], -v[38:39]
	v_add_f64 v[16:17], v[30:31], -v[34:35]
	v_add_f64 v[8:9], v[8:9], v[32:33]
	v_add_f64 v[8:9], v[8:9], v[36:37]
	v_add_f64 v[98:99], v[8:9], v[40:41]
	v_add_f64 v[8:9], v[32:33], v[36:37]
	v_fma_f64 v[8:9], v[8:9], -0.5, v[10:11]
	v_fma_f64 v[14:15], v[12:13], s[6:7], v[8:9]
	v_fma_f64 v[8:9], v[12:13], s[18:19], v[8:9]
	v_fma_f64 v[14:15], v[16:17], s[8:9], v[14:15]
	v_fma_f64 v[8:9], v[16:17], s[16:17], v[8:9]
	v_fma_f64 v[102:103], v[18:19], s[14:15], v[14:15]
	v_fma_f64 v[94:95], v[18:19], s[14:15], v[8:9]
	v_add_f64 v[8:9], v[28:29], v[40:41]
	v_add_f64 v[14:15], v[32:33], -v[28:29]
	v_add_f64 v[18:19], v[36:37], -v[40:41]
	v_fma_f64 v[8:9], v[8:9], -0.5, v[10:11]
	v_add_f64 v[14:15], v[14:15], v[18:19]
	v_add_f64 v[18:19], v[55:56], -v[50:51]
	v_fma_f64 v[10:11], v[16:17], s[18:19], v[8:9]
	v_fma_f64 v[8:9], v[16:17], s[6:7], v[8:9]
	v_add_f64 v[16:17], v[42:43], -v[46:47]
	v_fma_f64 v[10:11], v[12:13], s[8:9], v[10:11]
	v_fma_f64 v[8:9], v[12:13], s[16:17], v[8:9]
	v_add_f64 v[16:17], v[16:17], v[18:19]
	v_fma_f64 v[110:111], v[14:15], s[14:15], v[10:11]
	v_fma_f64 v[106:107], v[14:15], s[14:15], v[8:9]
	v_add_f64 v[8:9], v[4:5], v[42:43]
	v_add_f64 v[10:11], v[44:45], -v[57:58]
	v_add_f64 v[14:15], v[48:49], -v[53:54]
	v_add_f64 v[8:9], v[8:9], v[46:47]
	v_add_f64 v[8:9], v[8:9], v[50:51]
	v_add_f64 v[64:65], v[8:9], v[55:56]
	v_add_f64 v[8:9], v[46:47], v[50:51]
	;; [unrolled: 28-line block ×3, first 2 shown]
	v_fma_f64 v[4:5], v[4:5], -0.5, v[6:7]
	v_fma_f64 v[10:11], v[8:9], s[6:7], v[4:5]
	v_fma_f64 v[4:5], v[8:9], s[18:19], v[4:5]
	;; [unrolled: 1-line block ×6, first 2 shown]
	v_add_f64 v[4:5], v[44:45], v[57:58]
	v_add_f64 v[10:11], v[48:49], -v[44:45]
	v_add_f64 v[14:15], v[53:54], -v[57:58]
	v_fma_f64 v[4:5], v[4:5], -0.5, v[6:7]
	v_add_f64 v[10:11], v[10:11], v[14:15]
	v_fma_f64 v[6:7], v[12:13], s[18:19], v[4:5]
	v_fma_f64 v[4:5], v[12:13], s[6:7], v[4:5]
	s_mul_hi_u32 s6, s0, 0xffffb410
	s_sub_i32 s6, s6, s0
	v_fma_f64 v[6:7], v[8:9], s[8:9], v[6:7]
	v_fma_f64 v[4:5], v[8:9], s[16:17], v[4:5]
	;; [unrolled: 1-line block ×4, first 2 shown]
	buffer_load_dword v4, off, s[24:27], 0 offset:540 ; 4-byte Folded Reload
	s_waitcnt vmcnt(0)
	ds_write_b128 v4, v[84:87]
	ds_write_b128 v4, v[88:91] offset:720
	ds_write_b128 v4, v[112:115] offset:1440
	ds_write_b128 v4, v[0:3] offset:2160
	ds_write_b128 v4, v[80:83] offset:2880
	buffer_load_dword v0, off, s[24:27], 0 offset:528 ; 4-byte Folded Reload
	s_waitcnt vmcnt(0)
	ds_write_b128 v0, v[96:99]
	ds_write_b128 v0, v[100:103] offset:720
	ds_write_b128 v0, v[108:111] offset:1440
	ds_write_b128 v0, v[104:107] offset:2160
	ds_write_b128 v0, v[92:95] offset:2880
	;; [unrolled: 7-line block ×3, first 2 shown]
	s_waitcnt lgkmcnt(0)
	s_barrier
	buffer_gl0_inv
	ds_read_b128 v[0:3], v52
	ds_read_b128 v[4:7], v52 offset:10800
	ds_read_b128 v[8:11], v52 offset:21600
	;; [unrolled: 1-line block ×14, first 2 shown]
	s_waitcnt lgkmcnt(0)
	s_barrier
	buffer_gl0_inv
	v_mul_f64 v[61:62], v[150:151], v[6:7]
	v_fma_f64 v[61:62], v[148:149], v[4:5], v[61:62]
	v_mul_f64 v[4:5], v[150:151], v[4:5]
	v_fma_f64 v[63:64], v[148:149], v[6:7], -v[4:5]
	v_mul_f64 v[4:5], v[146:147], v[10:11]
	v_fma_f64 v[65:66], v[144:145], v[8:9], v[4:5]
	v_mul_f64 v[4:5], v[146:147], v[8:9]
	v_add_f64 v[6:7], v[61:62], v[65:66]
	v_fma_f64 v[10:11], v[144:145], v[10:11], -v[4:5]
	v_mul_f64 v[4:5], v[186:187], v[18:19]
	v_fma_f64 v[6:7], v[6:7], -0.5, v[0:1]
	v_add_f64 v[8:9], v[63:64], -v[10:11]
	v_fma_f64 v[67:68], v[184:185], v[16:17], v[4:5]
	v_mul_f64 v[4:5], v[186:187], v[16:17]
	v_add_f64 v[16:17], v[61:62], -v[65:66]
	v_fma_f64 v[69:70], v[184:185], v[18:19], -v[4:5]
	v_mul_f64 v[4:5], v[174:175], v[22:23]
	v_fma_f64 v[71:72], v[172:173], v[20:21], v[4:5]
	v_mul_f64 v[4:5], v[174:175], v[20:21]
	v_add_f64 v[18:19], v[67:68], v[71:72]
	v_fma_f64 v[22:23], v[172:173], v[22:23], -v[4:5]
	v_mul_f64 v[4:5], v[202:203], v[30:31]
	v_fma_f64 v[18:19], v[18:19], -0.5, v[12:13]
	v_add_f64 v[20:21], v[69:70], -v[22:23]
	v_fma_f64 v[73:74], v[200:201], v[28:29], v[4:5]
	v_mul_f64 v[4:5], v[202:203], v[28:29]
	v_add_f64 v[28:29], v[67:68], -v[71:72]
	v_fma_f64 v[75:76], v[200:201], v[30:31], -v[4:5]
	v_mul_f64 v[4:5], v[198:199], v[34:35]
	v_fma_f64 v[77:78], v[196:197], v[32:33], v[4:5]
	v_mul_f64 v[4:5], v[198:199], v[32:33]
	v_add_f64 v[30:31], v[73:74], v[77:78]
	v_fma_f64 v[34:35], v[196:197], v[34:35], -v[4:5]
	v_mul_f64 v[4:5], v[222:223], v[42:43]
	v_fma_f64 v[30:31], v[30:31], -0.5, v[24:25]
	v_add_f64 v[32:33], v[75:76], -v[34:35]
	v_fma_f64 v[79:80], v[220:221], v[40:41], v[4:5]
	v_mul_f64 v[4:5], v[222:223], v[40:41]
	v_add_f64 v[40:41], v[73:74], -v[77:78]
	v_fma_f64 v[81:82], v[220:221], v[42:43], -v[4:5]
	v_mul_f64 v[4:5], v[218:219], v[46:47]
	v_fma_f64 v[83:84], v[216:217], v[44:45], v[4:5]
	v_mul_f64 v[4:5], v[218:219], v[44:45]
	v_add_f64 v[42:43], v[79:80], v[83:84]
	v_fma_f64 v[46:47], v[216:217], v[46:47], -v[4:5]
	v_mul_f64 v[4:5], v[234:235], v[55:56]
	v_fma_f64 v[42:43], v[42:43], -0.5, v[36:37]
	v_add_f64 v[44:45], v[81:82], -v[46:47]
	v_fma_f64 v[85:86], v[232:233], v[53:54], v[4:5]
	v_mul_f64 v[4:5], v[234:235], v[53:54]
	v_add_f64 v[53:54], v[79:80], -v[83:84]
	v_fma_f64 v[87:88], v[232:233], v[55:56], -v[4:5]
	v_mul_f64 v[4:5], v[230:231], v[59:60]
	v_fma_f64 v[89:90], v[228:229], v[57:58], v[4:5]
	v_mul_f64 v[4:5], v[230:231], v[57:58]
	v_add_f64 v[55:56], v[85:86], v[89:90]
	v_fma_f64 v[59:60], v[228:229], v[59:60], -v[4:5]
	v_add_f64 v[4:5], v[0:1], v[61:62]
	v_fma_f64 v[0:1], v[8:9], s[4:5], v[6:7]
	v_fma_f64 v[8:9], v[8:9], s[2:3], v[6:7]
	v_add_f64 v[6:7], v[2:3], v[63:64]
	v_add_f64 v[61:62], v[85:86], -v[89:90]
	v_fma_f64 v[55:56], v[55:56], -0.5, v[48:49]
	v_add_f64 v[57:58], v[87:88], -v[59:60]
	v_add_f64 v[4:5], v[4:5], v[65:66]
	v_add_f64 v[6:7], v[6:7], v[10:11]
	;; [unrolled: 1-line block ×3, first 2 shown]
	v_fma_f64 v[10:11], v[10:11], -0.5, v[2:3]
	v_fma_f64 v[2:3], v[16:17], s[2:3], v[10:11]
	v_fma_f64 v[10:11], v[16:17], s[4:5], v[10:11]
	ds_write_b128 v52, v[4:7]
	ds_write_b128 v52, v[0:3] offset:3600
	ds_write_b128 v52, v[8:11] offset:7200
	buffer_load_dword v0, off, s[24:27], 0 offset:552 ; 4-byte Folded Reload
	v_add_f64 v[16:17], v[12:13], v[67:68]
	v_fma_f64 v[12:13], v[20:21], s[4:5], v[18:19]
	v_fma_f64 v[20:21], v[20:21], s[2:3], v[18:19]
	v_add_f64 v[18:19], v[14:15], v[69:70]
	v_add_f64 v[16:17], v[16:17], v[71:72]
	;; [unrolled: 1-line block ×4, first 2 shown]
	v_fma_f64 v[22:23], v[22:23], -0.5, v[14:15]
	v_fma_f64 v[14:15], v[28:29], s[2:3], v[22:23]
	v_fma_f64 v[22:23], v[28:29], s[4:5], v[22:23]
	v_add_f64 v[28:29], v[24:25], v[73:74]
	v_fma_f64 v[24:25], v[32:33], s[4:5], v[30:31]
	v_fma_f64 v[32:33], v[32:33], s[2:3], v[30:31]
	v_add_f64 v[30:31], v[26:27], v[75:76]
	v_add_f64 v[28:29], v[28:29], v[77:78]
	;; [unrolled: 1-line block ×4, first 2 shown]
	v_fma_f64 v[34:35], v[34:35], -0.5, v[26:27]
	v_fma_f64 v[26:27], v[40:41], s[2:3], v[34:35]
	v_fma_f64 v[34:35], v[40:41], s[4:5], v[34:35]
	s_waitcnt vmcnt(0)
	ds_write_b128 v0, v[16:19]
	ds_write_b128 v0, v[12:15] offset:3600
	ds_write_b128 v0, v[20:23] offset:7200
	;; [unrolled: 1-line block ×5, first 2 shown]
	buffer_load_dword v0, off, s[24:27], 0 offset:548 ; 4-byte Folded Reload
	v_add_f64 v[40:41], v[36:37], v[79:80]
	v_fma_f64 v[36:37], v[44:45], s[4:5], v[42:43]
	v_fma_f64 v[44:45], v[44:45], s[2:3], v[42:43]
	v_add_f64 v[42:43], v[38:39], v[81:82]
	v_add_f64 v[40:41], v[40:41], v[83:84]
	;; [unrolled: 1-line block ×4, first 2 shown]
	v_fma_f64 v[46:47], v[46:47], -0.5, v[38:39]
	v_fma_f64 v[38:39], v[53:54], s[2:3], v[46:47]
	v_fma_f64 v[46:47], v[53:54], s[4:5], v[46:47]
	s_waitcnt vmcnt(0)
	ds_write_b128 v0, v[40:43]
	ds_write_b128 v0, v[36:39] offset:3600
	ds_write_b128 v0, v[44:47] offset:7200
	buffer_load_dword v0, off, s[24:27], 0 offset:544 ; 4-byte Folded Reload
	v_add_f64 v[53:54], v[48:49], v[85:86]
	v_fma_f64 v[48:49], v[57:58], s[4:5], v[55:56]
	v_fma_f64 v[57:58], v[57:58], s[2:3], v[55:56]
	v_add_f64 v[55:56], v[50:51], v[87:88]
	v_add_f64 v[53:54], v[53:54], v[89:90]
	;; [unrolled: 1-line block ×4, first 2 shown]
	v_fma_f64 v[59:60], v[59:60], -0.5, v[50:51]
	v_fma_f64 v[50:51], v[61:62], s[2:3], v[59:60]
	v_fma_f64 v[59:60], v[61:62], s[4:5], v[59:60]
	s_waitcnt vmcnt(0)
	ds_write_b128 v0, v[53:56] offset:21600
	ds_write_b128 v0, v[48:51] offset:25200
	;; [unrolled: 1-line block ×3, first 2 shown]
	s_waitcnt lgkmcnt(0)
	s_barrier
	buffer_gl0_inv
	ds_read_b128 v[0:3], v52
	ds_read_b128 v[4:7], v52 offset:10800
	ds_read_b128 v[8:11], v52 offset:21600
	;; [unrolled: 1-line block ×14, first 2 shown]
	s_waitcnt lgkmcnt(13)
	v_mul_f64 v[61:62], v[242:243], v[6:7]
	v_fma_f64 v[61:62], v[240:241], v[4:5], v[61:62]
	v_mul_f64 v[4:5], v[242:243], v[4:5]
	v_fma_f64 v[63:64], v[240:241], v[6:7], -v[4:5]
	s_waitcnt lgkmcnt(12)
	v_mul_f64 v[4:5], v[238:239], v[10:11]
	v_fma_f64 v[65:66], v[236:237], v[8:9], v[4:5]
	v_mul_f64 v[4:5], v[238:239], v[8:9]
	v_add_f64 v[6:7], v[61:62], v[65:66]
	v_fma_f64 v[10:11], v[236:237], v[10:11], -v[4:5]
	s_waitcnt lgkmcnt(10)
	v_mul_f64 v[4:5], v[250:251], v[18:19]
	v_fma_f64 v[6:7], v[6:7], -0.5, v[0:1]
	v_add_f64 v[8:9], v[63:64], -v[10:11]
	v_fma_f64 v[67:68], v[248:249], v[16:17], v[4:5]
	v_mul_f64 v[4:5], v[250:251], v[16:17]
	v_add_f64 v[16:17], v[61:62], -v[65:66]
	v_fma_f64 v[69:70], v[248:249], v[18:19], -v[4:5]
	s_waitcnt lgkmcnt(9)
	v_mul_f64 v[4:5], v[246:247], v[22:23]
	v_fma_f64 v[71:72], v[244:245], v[20:21], v[4:5]
	v_mul_f64 v[4:5], v[246:247], v[20:21]
	v_add_f64 v[18:19], v[67:68], v[71:72]
	v_fma_f64 v[22:23], v[244:245], v[22:23], -v[4:5]
	s_waitcnt lgkmcnt(7)
	v_mul_f64 v[4:5], v[134:135], v[30:31]
	v_fma_f64 v[18:19], v[18:19], -0.5, v[12:13]
	v_add_f64 v[20:21], v[69:70], -v[22:23]
	v_fma_f64 v[73:74], v[132:133], v[28:29], v[4:5]
	v_mul_f64 v[4:5], v[134:135], v[28:29]
	v_add_f64 v[28:29], v[67:68], -v[71:72]
	;; [unrolled: 14-line block ×4, first 2 shown]
	v_fma_f64 v[87:88], v[116:117], v[55:56], -v[4:5]
	s_waitcnt lgkmcnt(0)
	v_mul_f64 v[4:5], v[122:123], v[59:60]
	v_fma_f64 v[89:90], v[120:121], v[57:58], v[4:5]
	v_mul_f64 v[4:5], v[122:123], v[57:58]
	v_add_f64 v[55:56], v[85:86], v[89:90]
	v_fma_f64 v[59:60], v[120:121], v[59:60], -v[4:5]
	v_add_f64 v[4:5], v[0:1], v[61:62]
	v_fma_f64 v[0:1], v[8:9], s[4:5], v[6:7]
	v_fma_f64 v[8:9], v[8:9], s[2:3], v[6:7]
	v_add_f64 v[6:7], v[2:3], v[63:64]
	v_add_f64 v[61:62], v[85:86], -v[89:90]
	v_fma_f64 v[55:56], v[55:56], -0.5, v[48:49]
	v_add_f64 v[57:58], v[87:88], -v[59:60]
	v_add_f64 v[4:5], v[4:5], v[65:66]
	v_add_f64 v[6:7], v[6:7], v[10:11]
	v_add_f64 v[10:11], v[63:64], v[10:11]
	v_fma_f64 v[10:11], v[10:11], -0.5, v[2:3]
	v_fma_f64 v[2:3], v[16:17], s[2:3], v[10:11]
	v_fma_f64 v[10:11], v[16:17], s[4:5], v[10:11]
	v_add_f64 v[16:17], v[12:13], v[67:68]
	v_fma_f64 v[12:13], v[20:21], s[4:5], v[18:19]
	v_fma_f64 v[20:21], v[20:21], s[2:3], v[18:19]
	v_add_f64 v[18:19], v[14:15], v[69:70]
	v_add_f64 v[16:17], v[16:17], v[71:72]
	v_add_f64 v[18:19], v[18:19], v[22:23]
	v_add_f64 v[22:23], v[69:70], v[22:23]
	v_fma_f64 v[22:23], v[22:23], -0.5, v[14:15]
	v_fma_f64 v[14:15], v[28:29], s[2:3], v[22:23]
	v_fma_f64 v[22:23], v[28:29], s[4:5], v[22:23]
	v_add_f64 v[28:29], v[24:25], v[73:74]
	v_fma_f64 v[24:25], v[32:33], s[4:5], v[30:31]
	v_fma_f64 v[32:33], v[32:33], s[2:3], v[30:31]
	v_add_f64 v[30:31], v[26:27], v[75:76]
	v_add_f64 v[28:29], v[28:29], v[77:78]
	v_add_f64 v[30:31], v[30:31], v[34:35]
	v_add_f64 v[34:35], v[75:76], v[34:35]
	v_fma_f64 v[34:35], v[34:35], -0.5, v[26:27]
	v_fma_f64 v[26:27], v[40:41], s[2:3], v[34:35]
	v_fma_f64 v[34:35], v[40:41], s[4:5], v[34:35]
	v_add_f64 v[40:41], v[36:37], v[79:80]
	v_fma_f64 v[36:37], v[44:45], s[4:5], v[42:43]
	v_fma_f64 v[44:45], v[44:45], s[2:3], v[42:43]
	v_add_f64 v[42:43], v[38:39], v[81:82]
	v_add_f64 v[40:41], v[40:41], v[83:84]
	v_add_f64 v[42:43], v[42:43], v[46:47]
	v_add_f64 v[46:47], v[81:82], v[46:47]
	v_fma_f64 v[46:47], v[46:47], -0.5, v[38:39]
	v_fma_f64 v[38:39], v[53:54], s[2:3], v[46:47]
	v_fma_f64 v[46:47], v[53:54], s[4:5], v[46:47]
	v_add_f64 v[53:54], v[48:49], v[85:86]
	v_fma_f64 v[48:49], v[57:58], s[4:5], v[55:56]
	v_fma_f64 v[57:58], v[57:58], s[2:3], v[55:56]
	v_add_f64 v[55:56], v[50:51], v[87:88]
	v_add_f64 v[53:54], v[53:54], v[89:90]
	v_add_f64 v[55:56], v[55:56], v[59:60]
	;; [unrolled: 1-line block ×3, first 2 shown]
	v_fma_f64 v[59:60], v[59:60], -0.5, v[50:51]
	v_fma_f64 v[50:51], v[61:62], s[2:3], v[59:60]
	v_fma_f64 v[59:60], v[61:62], s[4:5], v[59:60]
	ds_write_b128 v52, v[4:7]
	ds_write_b128 v52, v[0:3] offset:10800
	ds_write_b128 v52, v[8:11] offset:21600
	;; [unrolled: 1-line block ×14, first 2 shown]
	s_waitcnt lgkmcnt(0)
	s_barrier
	buffer_gl0_inv
	ds_read_b128 v[0:3], v52
	s_clause 0x3
	buffer_load_dword v8, off, s[24:27], 0 offset:216
	buffer_load_dword v9, off, s[24:27], 0 offset:220
	;; [unrolled: 1-line block ×4, first 2 shown]
	s_mov_b32 s2, 0xc0898b71
	s_mov_b32 s3, 0x3f402e85
	s_mul_i32 s4, s1, 0x2a30
	s_mul_hi_u32 s5, s0, 0x2a30
	s_add_i32 s4, s5, s4
	s_mul_i32 s5, s0, 0x2a30
	s_waitcnt vmcnt(0) lgkmcnt(0)
	v_mul_f64 v[4:5], v[10:11], v[2:3]
	v_fma_f64 v[4:5], v[8:9], v[0:1], v[4:5]
	v_mul_f64 v[0:1], v[10:11], v[0:1]
	v_mul_f64 v[6:7], v[4:5], s[2:3]
	v_fma_f64 v[0:1], v[8:9], v[2:3], -v[0:1]
	buffer_load_dword v2, off, s[24:27], 0 offset:248 ; 4-byte Folded Reload
	v_mul_f64 v[8:9], v[0:1], s[2:3]
	s_waitcnt vmcnt(0)
	v_mad_u64_u32 v[0:1], null, s0, v2, 0
	s_mulk_i32 s0, 0xb410
	v_mad_u64_u32 v[1:2], null, s1, v2, v[1:2]
	s_clause 0x1
	buffer_load_dword v2, off, s[24:27], 0 offset:208
	buffer_load_dword v3, off, s[24:27], 0 offset:212
	s_mulk_i32 s1, 0xb410
	s_add_i32 s1, s6, s1
	v_lshlrev_b64 v[0:1], 4, v[0:1]
	s_waitcnt vmcnt(0)
	v_lshlrev_b64 v[2:3], 4, v[2:3]
	v_add_co_u32 v2, vcc_lo, s12, v2
	v_add_co_ci_u32_e32 v3, vcc_lo, s13, v3, vcc_lo
	v_add_co_u32 v4, vcc_lo, v2, v0
	v_add_co_ci_u32_e32 v5, vcc_lo, v3, v1, vcc_lo
	global_store_dwordx4 v[4:5], v[6:9], off
	ds_read_b128 v[6:9], v52 offset:10800
	s_clause 0x3
	buffer_load_dword v10, off, s[24:27], 0 offset:232
	buffer_load_dword v11, off, s[24:27], 0 offset:236
	;; [unrolled: 1-line block ×4, first 2 shown]
	s_waitcnt vmcnt(0) lgkmcnt(0)
	v_mul_f64 v[0:1], v[12:13], v[8:9]
	v_mul_f64 v[2:3], v[12:13], v[6:7]
	v_fma_f64 v[0:1], v[10:11], v[6:7], v[0:1]
	v_fma_f64 v[2:3], v[10:11], v[8:9], -v[2:3]
	v_add_co_u32 v8, vcc_lo, v4, s5
	v_add_co_ci_u32_e32 v9, vcc_lo, s4, v5, vcc_lo
	v_mul_f64 v[0:1], v[0:1], s[2:3]
	v_mul_f64 v[2:3], v[2:3], s[2:3]
	global_store_dwordx4 v[8:9], v[0:3], off
	ds_read_b128 v[0:3], v52 offset:21600
	s_clause 0x3
	buffer_load_dword v10, off, s[24:27], 0 offset:96
	buffer_load_dword v11, off, s[24:27], 0 offset:100
	;; [unrolled: 1-line block ×4, first 2 shown]
	v_add_co_u32 v8, vcc_lo, v8, s5
	v_add_co_ci_u32_e32 v9, vcc_lo, s4, v9, vcc_lo
	s_waitcnt vmcnt(0) lgkmcnt(0)
	v_mul_f64 v[4:5], v[12:13], v[2:3]
	v_fma_f64 v[4:5], v[10:11], v[0:1], v[4:5]
	v_mul_f64 v[0:1], v[12:13], v[0:1]
	v_mul_f64 v[4:5], v[4:5], s[2:3]
	v_fma_f64 v[0:1], v[10:11], v[2:3], -v[0:1]
	v_mul_f64 v[6:7], v[0:1], s[2:3]
	ds_read_b128 v[0:3], v52 offset:2160
	global_store_dwordx4 v[8:9], v[4:7], off
	s_clause 0x3
	buffer_load_dword v10, off, s[24:27], 0 offset:144
	buffer_load_dword v11, off, s[24:27], 0 offset:148
	;; [unrolled: 1-line block ×4, first 2 shown]
	v_add_co_u32 v8, vcc_lo, v8, s0
	v_add_co_ci_u32_e32 v9, vcc_lo, s1, v9, vcc_lo
	s_waitcnt vmcnt(0) lgkmcnt(0)
	v_mul_f64 v[4:5], v[12:13], v[2:3]
	v_fma_f64 v[4:5], v[10:11], v[0:1], v[4:5]
	v_mul_f64 v[0:1], v[12:13], v[0:1]
	v_mul_f64 v[4:5], v[4:5], s[2:3]
	v_fma_f64 v[0:1], v[10:11], v[2:3], -v[0:1]
	v_mul_f64 v[6:7], v[0:1], s[2:3]
	ds_read_b128 v[0:3], v52 offset:12960
	global_store_dwordx4 v[8:9], v[4:7], off
	s_clause 0x3
	buffer_load_dword v10, off, s[24:27], 0
	buffer_load_dword v11, off, s[24:27], 0 offset:4
	buffer_load_dword v12, off, s[24:27], 0 offset:8
	buffer_load_dword v13, off, s[24:27], 0 offset:12
	v_add_co_u32 v8, vcc_lo, v8, s5
	v_add_co_ci_u32_e32 v9, vcc_lo, s4, v9, vcc_lo
	s_waitcnt vmcnt(0) lgkmcnt(0)
	v_mul_f64 v[4:5], v[12:13], v[2:3]
	v_fma_f64 v[4:5], v[10:11], v[0:1], v[4:5]
	v_mul_f64 v[0:1], v[12:13], v[0:1]
	v_mul_f64 v[4:5], v[4:5], s[2:3]
	v_fma_f64 v[0:1], v[10:11], v[2:3], -v[0:1]
	v_mul_f64 v[6:7], v[0:1], s[2:3]
	ds_read_b128 v[0:3], v52 offset:23760
	global_store_dwordx4 v[8:9], v[4:7], off
	s_clause 0x3
	buffer_load_dword v10, off, s[24:27], 0 offset:32
	buffer_load_dword v11, off, s[24:27], 0 offset:36
	buffer_load_dword v12, off, s[24:27], 0 offset:40
	buffer_load_dword v13, off, s[24:27], 0 offset:44
	v_add_co_u32 v8, vcc_lo, v8, s5
	v_add_co_ci_u32_e32 v9, vcc_lo, s4, v9, vcc_lo
	s_waitcnt vmcnt(0) lgkmcnt(0)
	v_mul_f64 v[4:5], v[12:13], v[2:3]
	v_fma_f64 v[4:5], v[10:11], v[0:1], v[4:5]
	v_mul_f64 v[0:1], v[12:13], v[0:1]
	v_mul_f64 v[4:5], v[4:5], s[2:3]
	v_fma_f64 v[0:1], v[10:11], v[2:3], -v[0:1]
	v_mul_f64 v[6:7], v[0:1], s[2:3]
	ds_read_b128 v[0:3], v52 offset:4320
	global_store_dwordx4 v[8:9], v[4:7], off
	s_clause 0x3
	buffer_load_dword v10, off, s[24:27], 0 offset:80
	;; [unrolled: 16-line block ×10, first 2 shown]
	buffer_load_dword v11, off, s[24:27], 0 offset:20
	buffer_load_dword v12, off, s[24:27], 0 offset:24
	;; [unrolled: 1-line block ×3, first 2 shown]
	s_waitcnt vmcnt(0) lgkmcnt(0)
	v_mul_f64 v[4:5], v[12:13], v[2:3]
	v_fma_f64 v[4:5], v[10:11], v[0:1], v[4:5]
	v_mul_f64 v[0:1], v[12:13], v[0:1]
	v_mul_f64 v[4:5], v[4:5], s[2:3]
	v_fma_f64 v[0:1], v[10:11], v[2:3], -v[0:1]
	v_mul_f64 v[6:7], v[0:1], s[2:3]
	v_add_co_u32 v0, vcc_lo, v8, s5
	v_add_co_ci_u32_e32 v1, vcc_lo, s4, v9, vcc_lo
	global_store_dwordx4 v[0:1], v[4:7], off
.LBB0_2:
	s_endpgm
	.section	.rodata,"a",@progbits
	.p2align	6, 0x0
	.amdhsa_kernel bluestein_single_fwd_len2025_dim1_dp_op_CI_CI
		.amdhsa_group_segment_fixed_size 32400
		.amdhsa_private_segment_fixed_size 560
		.amdhsa_kernarg_size 104
		.amdhsa_user_sgpr_count 6
		.amdhsa_user_sgpr_private_segment_buffer 1
		.amdhsa_user_sgpr_dispatch_ptr 0
		.amdhsa_user_sgpr_queue_ptr 0
		.amdhsa_user_sgpr_kernarg_segment_ptr 1
		.amdhsa_user_sgpr_dispatch_id 0
		.amdhsa_user_sgpr_flat_scratch_init 0
		.amdhsa_user_sgpr_private_segment_size 0
		.amdhsa_wavefront_size32 1
		.amdhsa_uses_dynamic_stack 0
		.amdhsa_system_sgpr_private_segment_wavefront_offset 1
		.amdhsa_system_sgpr_workgroup_id_x 1
		.amdhsa_system_sgpr_workgroup_id_y 0
		.amdhsa_system_sgpr_workgroup_id_z 0
		.amdhsa_system_sgpr_workgroup_info 0
		.amdhsa_system_vgpr_workitem_id 0
		.amdhsa_next_free_vgpr 256
		.amdhsa_next_free_sgpr 28
		.amdhsa_reserve_vcc 1
		.amdhsa_reserve_flat_scratch 0
		.amdhsa_float_round_mode_32 0
		.amdhsa_float_round_mode_16_64 0
		.amdhsa_float_denorm_mode_32 3
		.amdhsa_float_denorm_mode_16_64 3
		.amdhsa_dx10_clamp 1
		.amdhsa_ieee_mode 1
		.amdhsa_fp16_overflow 0
		.amdhsa_workgroup_processor_mode 1
		.amdhsa_memory_ordered 1
		.amdhsa_forward_progress 0
		.amdhsa_shared_vgpr_count 0
		.amdhsa_exception_fp_ieee_invalid_op 0
		.amdhsa_exception_fp_denorm_src 0
		.amdhsa_exception_fp_ieee_div_zero 0
		.amdhsa_exception_fp_ieee_overflow 0
		.amdhsa_exception_fp_ieee_underflow 0
		.amdhsa_exception_fp_ieee_inexact 0
		.amdhsa_exception_int_div_zero 0
	.end_amdhsa_kernel
	.text
.Lfunc_end0:
	.size	bluestein_single_fwd_len2025_dim1_dp_op_CI_CI, .Lfunc_end0-bluestein_single_fwd_len2025_dim1_dp_op_CI_CI
                                        ; -- End function
	.section	.AMDGPU.csdata,"",@progbits
; Kernel info:
; codeLenInByte = 25684
; NumSgprs: 30
; NumVgprs: 256
; ScratchSize: 560
; MemoryBound: 0
; FloatMode: 240
; IeeeMode: 1
; LDSByteSize: 32400 bytes/workgroup (compile time only)
; SGPRBlocks: 3
; VGPRBlocks: 31
; NumSGPRsForWavesPerEU: 30
; NumVGPRsForWavesPerEU: 256
; Occupancy: 4
; WaveLimiterHint : 1
; COMPUTE_PGM_RSRC2:SCRATCH_EN: 1
; COMPUTE_PGM_RSRC2:USER_SGPR: 6
; COMPUTE_PGM_RSRC2:TRAP_HANDLER: 0
; COMPUTE_PGM_RSRC2:TGID_X_EN: 1
; COMPUTE_PGM_RSRC2:TGID_Y_EN: 0
; COMPUTE_PGM_RSRC2:TGID_Z_EN: 0
; COMPUTE_PGM_RSRC2:TIDIG_COMP_CNT: 0
	.text
	.p2alignl 6, 3214868480
	.fill 48, 4, 3214868480
	.type	__hip_cuid_e441029ba2f49125,@object ; @__hip_cuid_e441029ba2f49125
	.section	.bss,"aw",@nobits
	.globl	__hip_cuid_e441029ba2f49125
__hip_cuid_e441029ba2f49125:
	.byte	0                               ; 0x0
	.size	__hip_cuid_e441029ba2f49125, 1

	.ident	"AMD clang version 19.0.0git (https://github.com/RadeonOpenCompute/llvm-project roc-6.4.0 25133 c7fe45cf4b819c5991fe208aaa96edf142730f1d)"
	.section	".note.GNU-stack","",@progbits
	.addrsig
	.addrsig_sym __hip_cuid_e441029ba2f49125
	.amdgpu_metadata
---
amdhsa.kernels:
  - .args:
      - .actual_access:  read_only
        .address_space:  global
        .offset:         0
        .size:           8
        .value_kind:     global_buffer
      - .actual_access:  read_only
        .address_space:  global
        .offset:         8
        .size:           8
        .value_kind:     global_buffer
      - .actual_access:  read_only
        .address_space:  global
        .offset:         16
        .size:           8
        .value_kind:     global_buffer
      - .actual_access:  read_only
        .address_space:  global
        .offset:         24
        .size:           8
        .value_kind:     global_buffer
      - .actual_access:  read_only
        .address_space:  global
        .offset:         32
        .size:           8
        .value_kind:     global_buffer
      - .offset:         40
        .size:           8
        .value_kind:     by_value
      - .address_space:  global
        .offset:         48
        .size:           8
        .value_kind:     global_buffer
      - .address_space:  global
        .offset:         56
        .size:           8
        .value_kind:     global_buffer
      - .address_space:  global
        .offset:         64
        .size:           8
        .value_kind:     global_buffer
      - .address_space:  global
        .offset:         72
        .size:           8
        .value_kind:     global_buffer
      - .offset:         80
        .size:           4
        .value_kind:     by_value
      - .address_space:  global
        .offset:         88
        .size:           8
        .value_kind:     global_buffer
      - .address_space:  global
        .offset:         96
        .size:           8
        .value_kind:     global_buffer
    .group_segment_fixed_size: 32400
    .kernarg_segment_align: 8
    .kernarg_segment_size: 104
    .language:       OpenCL C
    .language_version:
      - 2
      - 0
    .max_flat_workgroup_size: 135
    .name:           bluestein_single_fwd_len2025_dim1_dp_op_CI_CI
    .private_segment_fixed_size: 560
    .sgpr_count:     30
    .sgpr_spill_count: 0
    .symbol:         bluestein_single_fwd_len2025_dim1_dp_op_CI_CI.kd
    .uniform_work_group_size: 1
    .uses_dynamic_stack: false
    .vgpr_count:     256
    .vgpr_spill_count: 139
    .wavefront_size: 32
    .workgroup_processor_mode: 1
amdhsa.target:   amdgcn-amd-amdhsa--gfx1030
amdhsa.version:
  - 1
  - 2
...

	.end_amdgpu_metadata
